;; amdgpu-corpus repo=ggml-org/llama.cpp kind=compiled arch=gfx1100 opt=O3
	.text
	.amdgcn_target "amdgcn-amd-amdhsa--gfx1100"
	.amdhsa_code_object_version 6
	.section	.text._ZL13im2col_kernelI6__halfEvPKfPT_lllllllllllliiiiii,"axG",@progbits,_ZL13im2col_kernelI6__halfEvPKfPT_lllllllllllliiiiii,comdat
	.globl	_ZL13im2col_kernelI6__halfEvPKfPT_lllllllllllliiiiii ; -- Begin function _ZL13im2col_kernelI6__halfEvPKfPT_lllllllllllliiiiii
	.p2align	8
	.type	_ZL13im2col_kernelI6__halfEvPKfPT_lllllllllllliiiiii,@function
_ZL13im2col_kernelI6__halfEvPKfPT_lllllllllllliiiiii: ; @_ZL13im2col_kernelI6__halfEvPKfPT_lllllllllllliiiiii
; %bb.0:
	s_clause 0x1
	s_load_b32 s2, s[0:1], 0x94
	s_load_b64 s[28:29], s[0:1], 0x68
	s_waitcnt lgkmcnt(0)
	s_and_b32 s2, s2, 0xffff
	s_delay_alu instid0(SALU_CYCLE_1) | instskip(SKIP_2) | instid1(VALU_DEP_1)
	v_mad_u64_u32 v[1:2], null, s13, s2, v[0:1]
	v_mov_b32_e32 v2, 0
	s_mov_b32 s2, exec_lo
	v_cmpx_gt_i64_e64 s[28:29], v[1:2]
	s_cbranch_execz .LBB0_20
; %bb.1:
	s_load_b256 s[4:11], s[0:1], 0x18
	s_mov_b32 s12, s15
	s_mov_b32 s15, 0
	s_waitcnt lgkmcnt(0)
	v_cmp_ge_i64_e64 s2, s[14:15], s[10:11]
	s_delay_alu instid0(VALU_DEP_1)
	s_and_b32 vcc_lo, exec_lo, s2
	s_cbranch_vccnz .LBB0_20
; %bb.2:
	s_clause 0x1
	s_load_b256 s[16:23], s[0:1], 0x48
	s_load_b64 s[30:31], s[0:1], 0x38
	s_mov_b32 s2, s15
	s_waitcnt lgkmcnt(0)
	s_mov_b32 s3, s23
	s_delay_alu instid0(SALU_CYCLE_1)
	s_cmp_lg_u64 s[2:3], 0
	s_cbranch_scc0 .LBB0_21
; %bb.3:
	s_ashr_i32 s24, s23, 31
	s_delay_alu instid0(SALU_CYCLE_1) | instskip(SKIP_2) | instid1(SALU_CYCLE_1)
	s_add_u32 s2, s22, s24
	s_mov_b32 s25, s24
	s_addc_u32 s3, s23, s24
	s_xor_b64 s[26:27], s[2:3], s[24:25]
	s_delay_alu instid0(SALU_CYCLE_1) | instskip(SKIP_3) | instid1(VALU_DEP_1)
	v_cvt_f32_u32_e32 v0, s26
	v_cvt_f32_u32_e32 v3, s27
	s_sub_u32 s2, 0, s26
	s_subb_u32 s3, 0, s27
	v_fmamk_f32 v0, v3, 0x4f800000, v0
	s_delay_alu instid0(VALU_DEP_1) | instskip(SKIP_2) | instid1(VALU_DEP_1)
	v_rcp_f32_e32 v0, v0
	s_waitcnt_depctr 0xfff
	v_mul_f32_e32 v0, 0x5f7ffffc, v0
	v_mul_f32_e32 v3, 0x2f800000, v0
	s_delay_alu instid0(VALU_DEP_1) | instskip(NEXT) | instid1(VALU_DEP_1)
	v_trunc_f32_e32 v3, v3
	v_fmamk_f32 v0, v3, 0xcf800000, v0
	v_cvt_u32_f32_e32 v3, v3
	s_delay_alu instid0(VALU_DEP_2) | instskip(NEXT) | instid1(VALU_DEP_2)
	v_cvt_u32_f32_e32 v0, v0
	v_mul_lo_u32 v4, s2, v3
	s_delay_alu instid0(VALU_DEP_2) | instskip(SKIP_1) | instid1(VALU_DEP_2)
	v_mul_hi_u32 v5, s2, v0
	v_mul_lo_u32 v6, s3, v0
	v_add_nc_u32_e32 v4, v5, v4
	v_mul_lo_u32 v5, s2, v0
	s_delay_alu instid0(VALU_DEP_2) | instskip(NEXT) | instid1(VALU_DEP_2)
	v_add_nc_u32_e32 v4, v4, v6
	v_mul_hi_u32 v6, v0, v5
	s_delay_alu instid0(VALU_DEP_2)
	v_mul_lo_u32 v7, v0, v4
	v_mul_hi_u32 v8, v0, v4
	v_mul_hi_u32 v9, v3, v5
	v_mul_lo_u32 v5, v3, v5
	v_mul_hi_u32 v10, v3, v4
	v_mul_lo_u32 v4, v3, v4
	v_add_co_u32 v6, vcc_lo, v6, v7
	v_add_co_ci_u32_e32 v7, vcc_lo, 0, v8, vcc_lo
	s_delay_alu instid0(VALU_DEP_2) | instskip(NEXT) | instid1(VALU_DEP_2)
	v_add_co_u32 v5, vcc_lo, v6, v5
	v_add_co_ci_u32_e32 v5, vcc_lo, v7, v9, vcc_lo
	v_add_co_ci_u32_e32 v6, vcc_lo, 0, v10, vcc_lo
	s_delay_alu instid0(VALU_DEP_2) | instskip(NEXT) | instid1(VALU_DEP_2)
	v_add_co_u32 v4, vcc_lo, v5, v4
	v_add_co_ci_u32_e32 v5, vcc_lo, 0, v6, vcc_lo
	s_delay_alu instid0(VALU_DEP_2) | instskip(NEXT) | instid1(VALU_DEP_2)
	v_add_co_u32 v0, vcc_lo, v0, v4
	v_add_co_ci_u32_e32 v3, vcc_lo, v3, v5, vcc_lo
	s_delay_alu instid0(VALU_DEP_2) | instskip(SKIP_1) | instid1(VALU_DEP_3)
	v_mul_hi_u32 v4, s2, v0
	v_mul_lo_u32 v6, s3, v0
	v_mul_lo_u32 v5, s2, v3
	s_delay_alu instid0(VALU_DEP_1) | instskip(SKIP_1) | instid1(VALU_DEP_2)
	v_add_nc_u32_e32 v4, v4, v5
	v_mul_lo_u32 v5, s2, v0
	v_add_nc_u32_e32 v4, v4, v6
	s_delay_alu instid0(VALU_DEP_2) | instskip(NEXT) | instid1(VALU_DEP_2)
	v_mul_hi_u32 v6, v0, v5
	v_mul_lo_u32 v7, v0, v4
	v_mul_hi_u32 v8, v0, v4
	v_mul_hi_u32 v9, v3, v5
	v_mul_lo_u32 v5, v3, v5
	v_mul_hi_u32 v10, v3, v4
	v_mul_lo_u32 v4, v3, v4
	v_add_co_u32 v6, vcc_lo, v6, v7
	v_add_co_ci_u32_e32 v7, vcc_lo, 0, v8, vcc_lo
	s_delay_alu instid0(VALU_DEP_2) | instskip(NEXT) | instid1(VALU_DEP_2)
	v_add_co_u32 v5, vcc_lo, v6, v5
	v_add_co_ci_u32_e32 v5, vcc_lo, v7, v9, vcc_lo
	v_add_co_ci_u32_e32 v6, vcc_lo, 0, v10, vcc_lo
	s_delay_alu instid0(VALU_DEP_2) | instskip(NEXT) | instid1(VALU_DEP_2)
	v_add_co_u32 v4, vcc_lo, v5, v4
	v_add_co_ci_u32_e32 v5, vcc_lo, 0, v6, vcc_lo
	s_delay_alu instid0(VALU_DEP_2) | instskip(NEXT) | instid1(VALU_DEP_2)
	v_add_co_u32 v0, vcc_lo, v0, v4
	v_add_co_ci_u32_e32 v9, vcc_lo, v3, v5, vcc_lo
	s_delay_alu instid0(VALU_DEP_2) | instskip(SKIP_1) | instid1(VALU_DEP_3)
	v_mul_hi_u32 v10, v1, v0
	v_mad_u64_u32 v[5:6], null, 0, v0, 0
	v_mad_u64_u32 v[3:4], null, v1, v9, 0
	;; [unrolled: 1-line block ×3, first 2 shown]
	s_delay_alu instid0(VALU_DEP_2) | instskip(NEXT) | instid1(VALU_DEP_3)
	v_add_co_u32 v0, vcc_lo, v10, v3
	v_add_co_ci_u32_e32 v3, vcc_lo, 0, v4, vcc_lo
	s_delay_alu instid0(VALU_DEP_2) | instskip(NEXT) | instid1(VALU_DEP_2)
	v_add_co_u32 v0, vcc_lo, v0, v5
	v_add_co_ci_u32_e32 v0, vcc_lo, v3, v6, vcc_lo
	v_add_co_ci_u32_e32 v3, vcc_lo, 0, v8, vcc_lo
	s_delay_alu instid0(VALU_DEP_2) | instskip(NEXT) | instid1(VALU_DEP_2)
	v_add_co_u32 v0, vcc_lo, v0, v7
	v_add_co_ci_u32_e32 v5, vcc_lo, 0, v3, vcc_lo
	s_delay_alu instid0(VALU_DEP_2) | instskip(SKIP_1) | instid1(VALU_DEP_3)
	v_mul_lo_u32 v6, s27, v0
	v_mad_u64_u32 v[3:4], null, s26, v0, 0
	v_mul_lo_u32 v7, s26, v5
	s_delay_alu instid0(VALU_DEP_2) | instskip(NEXT) | instid1(VALU_DEP_2)
	v_sub_co_u32 v3, vcc_lo, v1, v3
	v_add3_u32 v4, v4, v7, v6
	s_delay_alu instid0(VALU_DEP_1) | instskip(NEXT) | instid1(VALU_DEP_1)
	v_sub_nc_u32_e32 v6, 0, v4
	v_subrev_co_ci_u32_e64 v6, s2, s27, v6, vcc_lo
	v_add_co_u32 v7, s2, v0, 2
	s_delay_alu instid0(VALU_DEP_1) | instskip(SKIP_3) | instid1(VALU_DEP_3)
	v_add_co_ci_u32_e64 v8, s2, 0, v5, s2
	v_sub_co_u32 v9, s2, v3, s26
	v_sub_co_ci_u32_e32 v4, vcc_lo, 0, v4, vcc_lo
	v_subrev_co_ci_u32_e64 v6, s2, 0, v6, s2
	v_cmp_le_u32_e32 vcc_lo, s26, v9
	s_delay_alu instid0(VALU_DEP_3) | instskip(SKIP_1) | instid1(VALU_DEP_4)
	v_cmp_eq_u32_e64 s2, s27, v4
	v_cndmask_b32_e64 v9, 0, -1, vcc_lo
	v_cmp_le_u32_e32 vcc_lo, s27, v6
	v_cndmask_b32_e64 v10, 0, -1, vcc_lo
	v_cmp_le_u32_e32 vcc_lo, s26, v3
	;; [unrolled: 2-line block ×3, first 2 shown]
	v_cndmask_b32_e64 v11, 0, -1, vcc_lo
	v_cmp_eq_u32_e32 vcc_lo, s27, v6
	s_delay_alu instid0(VALU_DEP_2) | instskip(SKIP_3) | instid1(VALU_DEP_3)
	v_cndmask_b32_e64 v3, v11, v3, s2
	v_cndmask_b32_e32 v6, v10, v9, vcc_lo
	v_add_co_u32 v9, vcc_lo, v0, 1
	v_add_co_ci_u32_e32 v10, vcc_lo, 0, v5, vcc_lo
	v_cmp_ne_u32_e32 vcc_lo, 0, v6
	s_delay_alu instid0(VALU_DEP_2) | instskip(NEXT) | instid1(VALU_DEP_4)
	v_cndmask_b32_e32 v4, v10, v8, vcc_lo
	v_cndmask_b32_e32 v6, v9, v7, vcc_lo
	v_cmp_ne_u32_e32 vcc_lo, 0, v3
	s_delay_alu instid0(VALU_DEP_2) | instskip(NEXT) | instid1(VALU_DEP_1)
	v_dual_cndmask_b32 v0, v0, v6 :: v_dual_cndmask_b32 v3, v5, v4
	v_xor_b32_e32 v0, s24, v0
	s_delay_alu instid0(VALU_DEP_2) | instskip(NEXT) | instid1(VALU_DEP_2)
	v_xor_b32_e32 v3, s24, v3
	v_sub_co_u32 v5, vcc_lo, v0, s24
	s_delay_alu instid0(VALU_DEP_2)
	v_subrev_co_ci_u32_e32 v6, vcc_lo, s24, v3, vcc_lo
	s_cbranch_execnz .LBB0_5
.LBB0_4:
	v_cvt_f32_u32_e32 v0, s22
	s_sub_i32 s2, 0, s22
	v_mov_b32_e32 v6, 0
	s_delay_alu instid0(VALU_DEP_2) | instskip(SKIP_2) | instid1(VALU_DEP_1)
	v_rcp_iflag_f32_e32 v0, v0
	s_waitcnt_depctr 0xfff
	v_mul_f32_e32 v0, 0x4f7ffffe, v0
	v_cvt_u32_f32_e32 v0, v0
	s_delay_alu instid0(VALU_DEP_1) | instskip(NEXT) | instid1(VALU_DEP_1)
	v_mul_lo_u32 v3, s2, v0
	v_mul_hi_u32 v3, v0, v3
	s_delay_alu instid0(VALU_DEP_1) | instskip(NEXT) | instid1(VALU_DEP_1)
	v_add_nc_u32_e32 v0, v0, v3
	v_mul_hi_u32 v0, v1, v0
	s_delay_alu instid0(VALU_DEP_1) | instskip(SKIP_1) | instid1(VALU_DEP_2)
	v_mul_lo_u32 v3, v0, s22
	v_add_nc_u32_e32 v4, 1, v0
	v_sub_nc_u32_e32 v3, v1, v3
	s_delay_alu instid0(VALU_DEP_1) | instskip(SKIP_1) | instid1(VALU_DEP_2)
	v_subrev_nc_u32_e32 v5, s22, v3
	v_cmp_le_u32_e32 vcc_lo, s22, v3
	v_dual_cndmask_b32 v3, v3, v5 :: v_dual_cndmask_b32 v0, v0, v4
	s_delay_alu instid0(VALU_DEP_1) | instskip(NEXT) | instid1(VALU_DEP_2)
	v_cmp_le_u32_e32 vcc_lo, s22, v3
	v_add_nc_u32_e32 v4, 1, v0
	s_delay_alu instid0(VALU_DEP_1)
	v_cndmask_b32_e32 v5, v0, v4, vcc_lo
.LBB0_5:
	s_delay_alu instid0(VALU_DEP_1) | instskip(NEXT) | instid1(VALU_DEP_2)
	v_mul_lo_u32 v0, v6, s22
	v_mul_lo_u32 v7, v5, s23
	v_mad_u64_u32 v[3:4], null, v5, s22, 0
	s_delay_alu instid0(VALU_DEP_1) | instskip(NEXT) | instid1(VALU_DEP_2)
	v_add3_u32 v4, v4, v7, v0
	v_sub_co_u32 v0, vcc_lo, v1, v3
	v_mov_b32_e32 v3, 0
	s_delay_alu instid0(VALU_DEP_3) | instskip(NEXT) | instid1(VALU_DEP_1)
	v_sub_co_ci_u32_e32 v7, vcc_lo, 0, v4, vcc_lo
	v_or_b32_e32 v4, s31, v7
	s_delay_alu instid0(VALU_DEP_1) | instskip(SKIP_1) | instid1(SALU_CYCLE_1)
	v_cmp_ne_u64_e32 vcc_lo, 0, v[3:4]
                                        ; implicit-def: $vgpr3_vgpr4
	s_and_saveexec_b32 s2, vcc_lo
	s_xor_b32 s3, exec_lo, s2
	s_cbranch_execz .LBB0_7
; %bb.6:
	s_ashr_i32 s22, s31, 31
	s_delay_alu instid0(SALU_CYCLE_1) | instskip(SKIP_2) | instid1(SALU_CYCLE_1)
	s_add_u32 s24, s30, s22
	s_mov_b32 s23, s22
	s_addc_u32 s25, s31, s22
	s_xor_b64 s[24:25], s[24:25], s[22:23]
	s_delay_alu instid0(SALU_CYCLE_1) | instskip(SKIP_3) | instid1(VALU_DEP_1)
	v_cvt_f32_u32_e32 v3, s24
	v_cvt_f32_u32_e32 v4, s25
	s_sub_u32 s2, 0, s24
	s_subb_u32 s13, 0, s25
	v_fmamk_f32 v3, v4, 0x4f800000, v3
	s_delay_alu instid0(VALU_DEP_1) | instskip(SKIP_2) | instid1(VALU_DEP_1)
	v_rcp_f32_e32 v3, v3
	s_waitcnt_depctr 0xfff
	v_mul_f32_e32 v3, 0x5f7ffffc, v3
	v_mul_f32_e32 v4, 0x2f800000, v3
	s_delay_alu instid0(VALU_DEP_1) | instskip(NEXT) | instid1(VALU_DEP_1)
	v_trunc_f32_e32 v4, v4
	v_fmamk_f32 v3, v4, 0xcf800000, v3
	v_cvt_u32_f32_e32 v4, v4
	s_delay_alu instid0(VALU_DEP_2) | instskip(NEXT) | instid1(VALU_DEP_2)
	v_cvt_u32_f32_e32 v3, v3
	v_mul_lo_u32 v8, s2, v4
	s_delay_alu instid0(VALU_DEP_2) | instskip(SKIP_1) | instid1(VALU_DEP_2)
	v_mul_hi_u32 v9, s2, v3
	v_mul_lo_u32 v10, s13, v3
	v_add_nc_u32_e32 v8, v9, v8
	v_mul_lo_u32 v9, s2, v3
	s_delay_alu instid0(VALU_DEP_2) | instskip(NEXT) | instid1(VALU_DEP_2)
	v_add_nc_u32_e32 v8, v8, v10
	v_mul_hi_u32 v10, v3, v9
	s_delay_alu instid0(VALU_DEP_2)
	v_mul_lo_u32 v11, v3, v8
	v_mul_hi_u32 v12, v3, v8
	v_mul_hi_u32 v13, v4, v9
	v_mul_lo_u32 v9, v4, v9
	v_mul_hi_u32 v14, v4, v8
	v_mul_lo_u32 v8, v4, v8
	v_add_co_u32 v10, vcc_lo, v10, v11
	v_add_co_ci_u32_e32 v11, vcc_lo, 0, v12, vcc_lo
	s_delay_alu instid0(VALU_DEP_2) | instskip(NEXT) | instid1(VALU_DEP_2)
	v_add_co_u32 v9, vcc_lo, v10, v9
	v_add_co_ci_u32_e32 v9, vcc_lo, v11, v13, vcc_lo
	v_add_co_ci_u32_e32 v10, vcc_lo, 0, v14, vcc_lo
	v_ashrrev_i32_e32 v13, 31, v7
	s_delay_alu instid0(VALU_DEP_3) | instskip(NEXT) | instid1(VALU_DEP_3)
	v_add_co_u32 v8, vcc_lo, v9, v8
	v_add_co_ci_u32_e32 v9, vcc_lo, 0, v10, vcc_lo
	s_delay_alu instid0(VALU_DEP_2) | instskip(NEXT) | instid1(VALU_DEP_2)
	v_add_co_u32 v3, vcc_lo, v3, v8
	v_add_co_ci_u32_e32 v4, vcc_lo, v4, v9, vcc_lo
	s_delay_alu instid0(VALU_DEP_2) | instskip(SKIP_1) | instid1(VALU_DEP_3)
	v_mul_hi_u32 v8, s2, v3
	v_mul_lo_u32 v10, s13, v3
	v_mul_lo_u32 v9, s2, v4
	s_delay_alu instid0(VALU_DEP_1) | instskip(SKIP_1) | instid1(VALU_DEP_2)
	v_add_nc_u32_e32 v8, v8, v9
	v_mul_lo_u32 v9, s2, v3
	v_add_nc_u32_e32 v8, v8, v10
	s_delay_alu instid0(VALU_DEP_2) | instskip(NEXT) | instid1(VALU_DEP_2)
	v_mul_hi_u32 v10, v3, v9
	v_mul_lo_u32 v11, v3, v8
	v_mul_hi_u32 v12, v3, v8
	v_mul_hi_u32 v14, v4, v9
	v_mul_lo_u32 v9, v4, v9
	v_mul_hi_u32 v15, v4, v8
	v_mul_lo_u32 v8, v4, v8
	v_add_co_u32 v10, vcc_lo, v10, v11
	v_add_co_ci_u32_e32 v11, vcc_lo, 0, v12, vcc_lo
	s_delay_alu instid0(VALU_DEP_2) | instskip(NEXT) | instid1(VALU_DEP_2)
	v_add_co_u32 v9, vcc_lo, v10, v9
	v_add_co_ci_u32_e32 v9, vcc_lo, v11, v14, vcc_lo
	v_add_co_ci_u32_e32 v10, vcc_lo, 0, v15, vcc_lo
	v_add_co_u32 v11, vcc_lo, v0, v13
	v_add_co_ci_u32_e32 v12, vcc_lo, v7, v13, vcc_lo
	s_delay_alu instid0(VALU_DEP_4) | instskip(NEXT) | instid1(VALU_DEP_4)
	v_add_co_u32 v8, vcc_lo, v9, v8
	v_add_co_ci_u32_e32 v9, vcc_lo, 0, v10, vcc_lo
	s_delay_alu instid0(VALU_DEP_4) | instskip(NEXT) | instid1(VALU_DEP_3)
	v_xor_b32_e32 v14, v11, v13
	v_add_co_u32 v10, vcc_lo, v3, v8
	s_delay_alu instid0(VALU_DEP_3) | instskip(SKIP_1) | instid1(VALU_DEP_3)
	v_add_co_ci_u32_e32 v15, vcc_lo, v4, v9, vcc_lo
	v_xor_b32_e32 v12, v12, v13
	v_mul_hi_u32 v16, v14, v10
	s_delay_alu instid0(VALU_DEP_3) | instskip(NEXT) | instid1(VALU_DEP_3)
	v_mad_u64_u32 v[3:4], null, v14, v15, 0
	v_mad_u64_u32 v[8:9], null, v12, v10, 0
	;; [unrolled: 1-line block ×3, first 2 shown]
	s_delay_alu instid0(VALU_DEP_3) | instskip(NEXT) | instid1(VALU_DEP_4)
	v_add_co_u32 v3, vcc_lo, v16, v3
	v_add_co_ci_u32_e32 v4, vcc_lo, 0, v4, vcc_lo
	s_delay_alu instid0(VALU_DEP_2) | instskip(NEXT) | instid1(VALU_DEP_2)
	v_add_co_u32 v3, vcc_lo, v3, v8
	v_add_co_ci_u32_e32 v3, vcc_lo, v4, v9, vcc_lo
	v_add_co_ci_u32_e32 v4, vcc_lo, 0, v11, vcc_lo
	s_delay_alu instid0(VALU_DEP_2) | instskip(NEXT) | instid1(VALU_DEP_2)
	v_add_co_u32 v8, vcc_lo, v3, v10
	v_add_co_ci_u32_e32 v9, vcc_lo, 0, v4, vcc_lo
	s_delay_alu instid0(VALU_DEP_2) | instskip(SKIP_1) | instid1(VALU_DEP_3)
	v_mul_lo_u32 v10, s25, v8
	v_mad_u64_u32 v[3:4], null, s24, v8, 0
	v_mul_lo_u32 v11, s24, v9
	s_delay_alu instid0(VALU_DEP_2) | instskip(NEXT) | instid1(VALU_DEP_2)
	v_sub_co_u32 v3, vcc_lo, v14, v3
	v_add3_u32 v4, v4, v11, v10
	s_delay_alu instid0(VALU_DEP_1) | instskip(NEXT) | instid1(VALU_DEP_1)
	v_sub_nc_u32_e32 v10, v12, v4
	v_subrev_co_ci_u32_e64 v10, s2, s25, v10, vcc_lo
	v_add_co_u32 v11, s2, v8, 2
	s_delay_alu instid0(VALU_DEP_1) | instskip(SKIP_3) | instid1(VALU_DEP_3)
	v_add_co_ci_u32_e64 v14, s2, 0, v9, s2
	v_sub_co_u32 v15, s2, v3, s24
	v_sub_co_ci_u32_e32 v4, vcc_lo, v12, v4, vcc_lo
	v_subrev_co_ci_u32_e64 v10, s2, 0, v10, s2
	v_cmp_le_u32_e32 vcc_lo, s24, v15
	s_delay_alu instid0(VALU_DEP_3) | instskip(SKIP_1) | instid1(VALU_DEP_4)
	v_cmp_eq_u32_e64 s2, s25, v4
	v_cndmask_b32_e64 v12, 0, -1, vcc_lo
	v_cmp_le_u32_e32 vcc_lo, s25, v10
	v_cndmask_b32_e64 v15, 0, -1, vcc_lo
	v_cmp_le_u32_e32 vcc_lo, s24, v3
	;; [unrolled: 2-line block ×3, first 2 shown]
	v_cndmask_b32_e64 v16, 0, -1, vcc_lo
	v_cmp_eq_u32_e32 vcc_lo, s25, v10
	s_delay_alu instid0(VALU_DEP_2) | instskip(SKIP_3) | instid1(VALU_DEP_3)
	v_cndmask_b32_e64 v3, v16, v3, s2
	v_cndmask_b32_e32 v10, v15, v12, vcc_lo
	v_add_co_u32 v12, vcc_lo, v8, 1
	v_add_co_ci_u32_e32 v15, vcc_lo, 0, v9, vcc_lo
	v_cmp_ne_u32_e32 vcc_lo, 0, v10
	s_delay_alu instid0(VALU_DEP_2) | instskip(NEXT) | instid1(VALU_DEP_4)
	v_cndmask_b32_e32 v4, v15, v14, vcc_lo
	v_cndmask_b32_e32 v10, v12, v11, vcc_lo
	v_cmp_ne_u32_e32 vcc_lo, 0, v3
	v_xor_b32_e32 v11, s22, v13
	s_delay_alu instid0(VALU_DEP_3) | instskip(NEXT) | instid1(VALU_DEP_1)
	v_dual_cndmask_b32 v3, v9, v4 :: v_dual_cndmask_b32 v4, v8, v10
	v_xor_b32_e32 v8, v3, v11
	s_delay_alu instid0(VALU_DEP_2) | instskip(NEXT) | instid1(VALU_DEP_1)
	v_xor_b32_e32 v4, v4, v11
	v_sub_co_u32 v3, vcc_lo, v4, v11
	s_delay_alu instid0(VALU_DEP_3)
	v_sub_co_ci_u32_e32 v4, vcc_lo, v8, v11, vcc_lo
.LBB0_7:
	s_and_not1_saveexec_b32 s2, s3
	s_cbranch_execz .LBB0_9
; %bb.8:
	v_cvt_f32_u32_e32 v3, s30
	s_sub_i32 s3, 0, s30
	s_delay_alu instid0(VALU_DEP_1) | instskip(SKIP_2) | instid1(VALU_DEP_1)
	v_rcp_iflag_f32_e32 v3, v3
	s_waitcnt_depctr 0xfff
	v_mul_f32_e32 v3, 0x4f7ffffe, v3
	v_cvt_u32_f32_e32 v3, v3
	s_delay_alu instid0(VALU_DEP_1) | instskip(NEXT) | instid1(VALU_DEP_1)
	v_mul_lo_u32 v4, s3, v3
	v_mul_hi_u32 v4, v3, v4
	s_delay_alu instid0(VALU_DEP_1) | instskip(NEXT) | instid1(VALU_DEP_1)
	v_add_nc_u32_e32 v3, v3, v4
	v_mul_hi_u32 v3, v0, v3
	s_delay_alu instid0(VALU_DEP_1) | instskip(SKIP_1) | instid1(VALU_DEP_2)
	v_mul_lo_u32 v4, v3, s30
	v_add_nc_u32_e32 v8, 1, v3
	v_sub_nc_u32_e32 v4, v0, v4
	s_delay_alu instid0(VALU_DEP_1) | instskip(SKIP_1) | instid1(VALU_DEP_2)
	v_subrev_nc_u32_e32 v9, s30, v4
	v_cmp_le_u32_e32 vcc_lo, s30, v4
	v_dual_cndmask_b32 v4, v4, v9 :: v_dual_cndmask_b32 v3, v3, v8
	s_delay_alu instid0(VALU_DEP_1) | instskip(SKIP_1) | instid1(VALU_DEP_3)
	v_cmp_le_u32_e32 vcc_lo, s30, v4
	v_mov_b32_e32 v4, 0
	v_add_nc_u32_e32 v8, 1, v3
	s_delay_alu instid0(VALU_DEP_1)
	v_cndmask_b32_e32 v3, v3, v8, vcc_lo
.LBB0_9:
	s_or_b32 exec_lo, exec_lo, s2
	s_clause 0x1
	s_load_b128 s[24:27], s[0:1], 0x70
	s_load_b64 s[34:35], s[0:1], 0x80
	v_mul_lo_u32 v10, v4, s30
	v_mul_lo_u32 v11, v3, s31
	v_mad_u64_u32 v[8:9], null, v3, s30, 0
	v_mul_lo_u32 v12, v6, s16
	s_load_b128 s[0:3], s[0:1], 0x0
	s_mov_b32 s22, 0
	s_delay_alu instid0(SALU_CYCLE_1) | instskip(NEXT) | instid1(VALU_DEP_2)
	s_mov_b32 s13, s22
	v_add3_u32 v6, v9, v11, v10
	s_delay_alu instid0(VALU_DEP_3) | instskip(SKIP_1) | instid1(VALU_DEP_3)
	v_sub_co_u32 v0, vcc_lo, v0, v8
	v_mul_lo_u32 v10, v5, s17
	v_sub_co_ci_u32_e32 v6, vcc_lo, v7, v6, vcc_lo
	s_waitcnt lgkmcnt(0)
	s_ashr_i32 s30, s24, 31
	s_ashr_i32 s17, s34, 31
	s_delay_alu instid0(VALU_DEP_1)
	v_mul_lo_u32 v11, v6, s34
	v_mad_u64_u32 v[6:7], null, v0, s34, 0
	v_mul_lo_u32 v0, v0, s17
	s_ashr_i32 s23, s35, 31
	v_mad_u64_u32 v[8:9], null, v3, s35, 0
	v_mul_lo_u32 v13, v4, s35
	s_ashr_i32 s17, s26, 31
	s_mov_b32 s31, s24
	s_mul_i32 s24, s10, s12
	s_delay_alu instid0(VALU_DEP_3) | instskip(SKIP_3) | instid1(VALU_DEP_4)
	v_add3_u32 v0, v7, v0, v11
	v_mul_lo_u32 v11, v3, s23
	v_sub_co_u32 v3, vcc_lo, v6, s26
	v_mad_u64_u32 v[6:7], null, v5, s16, 0
	v_subrev_co_ci_u32_e32 v4, vcc_lo, s17, v0, vcc_lo
	s_mul_i32 s16, s11, s12
	s_mul_hi_u32 s17, s10, s12
	s_ashr_i32 s33, s25, 31
	s_ashr_i32 s23, s27, 31
	s_delay_alu instid0(VALU_DEP_2)
	v_add3_u32 v7, v7, v10, v12
	s_add_i32 s17, s17, s16
	s_add_u32 s16, s24, s14
	v_add3_u32 v0, v9, v11, v13
	s_addc_u32 s17, s17, 0
	v_lshlrev_b64 v[9:10], 2, v[6:7]
	v_cvt_f32_u32_e32 v7, s8
	s_mul_i32 s17, s28, s17
	s_mul_hi_u32 s24, s28, s16
	v_sub_co_u32 v5, vcc_lo, v8, s27
	s_add_i32 s17, s24, s17
	s_mul_i32 s24, s29, s16
	v_rcp_iflag_f32_e32 v7, v7
	s_add_i32 s17, s17, s24
	s_mul_i32 s16, s28, s16
	v_subrev_co_ci_u32_e32 v6, vcc_lo, s23, v0, vcc_lo
	v_lshlrev_b64 v[0:1], 1, v[1:2]
	s_lshl_b64 s[16:17], s[16:17], 1
	v_add_co_u32 v2, vcc_lo, s0, v9
	s_add_u32 s0, s2, s16
	v_add_co_ci_u32_e32 v13, vcc_lo, s1, v10, vcc_lo
	s_addc_u32 s1, s3, s17
	v_add_co_u32 v0, vcc_lo, s0, v0
	v_add_co_ci_u32_e32 v1, vcc_lo, s1, v1, vcc_lo
	s_mul_i32 s0, s29, 0x1fffe
	s_mul_hi_u32 s1, s28, 0x1fffe
	s_mul_i32 s26, s28, 0x1fffe
	v_mul_f32_e32 v7, 0x4f7ffffe, v7
	s_add_i32 s27, s1, s0
	s_mul_i32 s0, s26, s11
	s_mul_hi_u32 s1, s26, s10
	s_mul_i32 s2, s27, s10
	s_add_i32 s0, s1, s0
	v_cmp_lt_i64_e64 s35, s[12:13], s[20:21]
	v_cvt_u32_f32_e32 v14, v7
	s_add_i32 s28, s0, s2
	s_sub_u32 s36, 0, s8
	s_mov_b32 s34, s25
	s_mul_i32 s29, s26, s10
	s_subb_u32 s37, 0, s9
	s_ashr_i32 s2, s9, 31
	s_branch .LBB0_11
.LBB0_10:                               ;   in Loop: Header=BB0_11 Depth=1
	s_add_u32 s14, s14, 0xffff
	s_addc_u32 s15, s15, 0
	v_add_co_u32 v0, vcc_lo, v0, s26
	v_cmp_ge_i64_e64 s0, s[14:15], s[10:11]
	v_add_co_ci_u32_e32 v1, vcc_lo, s27, v1, vcc_lo
	s_delay_alu instid0(VALU_DEP_2)
	s_and_b32 vcc_lo, exec_lo, s0
	s_cbranch_vccnz .LBB0_20
.LBB0_11:                               ; =>This Loop Header: Depth=1
                                        ;     Child Loop BB0_14 Depth 2
	s_and_not1_b32 vcc_lo, exec_lo, s35
	s_cbranch_vccnz .LBB0_10
; %bb.12:                               ;   in Loop: Header=BB0_11 Depth=1
	v_mad_u64_u32 v[7:8], null, s14, s31, v[3:4]
	s_mul_i32 s0, s15, s31
	s_mul_i32 s1, s14, s30
	v_dual_mov_b32 v10, v1 :: v_dual_mov_b32 v9, v0
	s_mov_b64 s[16:17], s[12:13]
	s_delay_alu instid0(VALU_DEP_2) | instskip(NEXT) | instid1(VALU_DEP_1)
	v_add3_u32 v8, s1, s0, v8
	v_cmp_lt_i64_e32 vcc_lo, -1, v[7:8]
	v_cmp_gt_i64_e64 s0, s[4:5], v[7:8]
	v_lshlrev_b64 v[7:8], 2, v[7:8]
	s_delay_alu instid0(VALU_DEP_2)
	s_and_b32 s38, vcc_lo, s0
	s_branch .LBB0_14
.LBB0_13:                               ;   in Loop: Header=BB0_14 Depth=2
	s_or_b32 exec_lo, exec_lo, s0
	s_add_u32 s16, s16, 0xffff
	s_addc_u32 s17, s17, 0
	global_store_b16 v[9:10], v15, off
	v_cmp_ge_i64_e64 s0, s[16:17], s[20:21]
	v_add_co_u32 v9, vcc_lo, v9, s29
	v_add_co_ci_u32_e32 v10, vcc_lo, s28, v10, vcc_lo
	s_delay_alu instid0(VALU_DEP_3)
	s_and_b32 vcc_lo, exec_lo, s0
	s_cbranch_vccnz .LBB0_10
.LBB0_14:                               ;   Parent Loop BB0_11 Depth=1
                                        ; =>  This Inner Loop Header: Depth=2
	s_or_b64 s[0:1], s[16:17], s[8:9]
	s_delay_alu instid0(SALU_CYCLE_1) | instskip(NEXT) | instid1(SALU_CYCLE_1)
	s_mov_b32 s23, s1
	s_cmp_lg_u64 s[22:23], 0
	s_cbranch_scc0 .LBB0_19
; %bb.15:                               ;   in Loop: Header=BB0_14 Depth=2
	s_add_u32 s0, s8, s2
	s_mov_b32 s3, s2
	s_addc_u32 s1, s9, s2
	s_delay_alu instid0(SALU_CYCLE_1) | instskip(NEXT) | instid1(SALU_CYCLE_1)
	s_xor_b64 s[0:1], s[0:1], s[2:3]
	v_cvt_f32_u32_e32 v11, s0
	v_cvt_f32_u32_e32 v12, s1
	s_sub_u32 s25, 0, s0
	s_subb_u32 s39, 0, s1
	s_delay_alu instid0(VALU_DEP_1) | instskip(NEXT) | instid1(VALU_DEP_1)
	v_fmac_f32_e32 v11, 0x4f800000, v12
	v_rcp_f32_e32 v11, v11
	s_waitcnt_depctr 0xfff
	v_mul_f32_e32 v11, 0x5f7ffffc, v11
	s_delay_alu instid0(VALU_DEP_1) | instskip(NEXT) | instid1(VALU_DEP_1)
	v_mul_f32_e32 v12, 0x2f800000, v11
	v_trunc_f32_e32 v12, v12
	s_delay_alu instid0(VALU_DEP_1) | instskip(SKIP_1) | instid1(VALU_DEP_2)
	v_fmac_f32_e32 v11, 0xcf800000, v12
	v_cvt_u32_f32_e32 v12, v12
	v_cvt_u32_f32_e32 v11, v11
	s_delay_alu instid0(VALU_DEP_2) | instskip(NEXT) | instid1(VALU_DEP_2)
	v_readfirstlane_b32 s23, v12
	v_readfirstlane_b32 s24, v11
	s_delay_alu instid0(VALU_DEP_2) | instskip(NEXT) | instid1(VALU_DEP_1)
	s_mul_i32 s40, s25, s23
	s_mul_hi_u32 s42, s25, s24
	s_mul_i32 s41, s39, s24
	s_add_i32 s40, s42, s40
	s_mul_i32 s43, s25, s24
	s_add_i32 s40, s40, s41
	s_mul_hi_u32 s42, s24, s43
	s_mul_hi_u32 s44, s23, s43
	s_mul_i32 s41, s23, s43
	s_mul_hi_u32 s43, s24, s40
	s_mul_i32 s24, s24, s40
	s_mul_hi_u32 s45, s23, s40
	s_add_u32 s24, s42, s24
	s_addc_u32 s42, 0, s43
	s_add_u32 s24, s24, s41
	s_mul_i32 s40, s23, s40
	s_addc_u32 s24, s42, s44
	s_addc_u32 s41, s45, 0
	s_add_u32 s24, s24, s40
	s_addc_u32 s40, 0, s41
	v_add_co_u32 v11, s24, v11, s24
	s_delay_alu instid0(VALU_DEP_1) | instskip(SKIP_1) | instid1(VALU_DEP_1)
	s_cmp_lg_u32 s24, 0
	s_addc_u32 s23, s23, s40
	v_readfirstlane_b32 s24, v11
	s_mul_i32 s40, s25, s23
	s_delay_alu instid0(VALU_DEP_1)
	s_mul_hi_u32 s41, s25, s24
	s_mul_i32 s39, s39, s24
	s_add_i32 s40, s41, s40
	s_mul_i32 s25, s25, s24
	s_add_i32 s40, s40, s39
	s_mul_hi_u32 s41, s23, s25
	s_mul_i32 s42, s23, s25
	s_mul_hi_u32 s25, s24, s25
	s_mul_hi_u32 s43, s24, s40
	s_mul_i32 s24, s24, s40
	s_mul_hi_u32 s39, s23, s40
	s_add_u32 s24, s25, s24
	s_addc_u32 s25, 0, s43
	s_add_u32 s24, s24, s42
	s_mul_i32 s40, s23, s40
	s_addc_u32 s24, s25, s41
	s_addc_u32 s25, s39, 0
	s_add_u32 s24, s24, s40
	s_addc_u32 s25, 0, s25
	v_add_co_u32 v11, s24, v11, s24
	s_delay_alu instid0(VALU_DEP_1) | instskip(SKIP_2) | instid1(VALU_DEP_1)
	s_cmp_lg_u32 s24, 0
	s_addc_u32 s23, s23, s25
	s_ashr_i32 s24, s17, 31
	v_readfirstlane_b32 s39, v11
	s_add_u32 s40, s16, s24
	s_mov_b32 s25, s24
	s_addc_u32 s41, s17, s24
	s_delay_alu instid0(SALU_CYCLE_1) | instskip(NEXT) | instid1(SALU_CYCLE_1)
	s_xor_b64 s[40:41], s[40:41], s[24:25]
	s_mul_i32 s43, s40, s23
	s_mul_hi_u32 s44, s40, s39
	s_mul_hi_u32 s42, s40, s23
	s_mul_hi_u32 s46, s41, s39
	s_mul_i32 s39, s41, s39
	s_add_u32 s43, s44, s43
	s_addc_u32 s42, 0, s42
	s_mul_hi_u32 s45, s41, s23
	s_add_u32 s39, s43, s39
	s_mul_i32 s23, s41, s23
	s_addc_u32 s39, s42, s46
	s_addc_u32 s42, s45, 0
	s_add_u32 s23, s39, s23
	s_addc_u32 s39, 0, s42
	s_mul_i32 s45, s0, s23
	s_mul_hi_u32 s42, s0, s23
	s_mul_i32 s44, s0, s39
	v_sub_co_u32 v11, s40, s40, s45
	s_mul_i32 s43, s1, s23
	s_add_i32 s42, s42, s44
	s_delay_alu instid0(SALU_CYCLE_1) | instskip(NEXT) | instid1(VALU_DEP_1)
	s_add_i32 s42, s42, s43
	v_sub_co_u32 v12, s44, v11, s0
	s_sub_i32 s43, s41, s42
	s_cmp_lg_u32 s40, 0
	s_subb_u32 s43, s43, s1
	s_cmp_lg_u32 s44, 0
	v_readfirstlane_b32 s44, v12
	s_subb_u32 s43, s43, 0
	s_delay_alu instid0(SALU_CYCLE_1) | instskip(SKIP_1) | instid1(VALU_DEP_1)
	s_cmp_ge_u32 s43, s1
	s_cselect_b32 s45, -1, 0
	s_cmp_ge_u32 s44, s0
	s_cselect_b32 s44, -1, 0
	s_cmp_eq_u32 s43, s1
	s_cselect_b32 s43, s44, s45
	s_add_u32 s44, s23, 1
	s_addc_u32 s45, s39, 0
	s_add_u32 s46, s23, 2
	s_addc_u32 s47, s39, 0
	s_cmp_lg_u32 s43, 0
	s_cselect_b32 s43, s46, s44
	s_cselect_b32 s44, s47, s45
	s_cmp_lg_u32 s40, 0
	v_readfirstlane_b32 s40, v11
	s_subb_u32 s41, s41, s42
	s_delay_alu instid0(SALU_CYCLE_1) | instskip(SKIP_1) | instid1(VALU_DEP_1)
	s_cmp_ge_u32 s41, s1
	s_cselect_b32 s42, -1, 0
	s_cmp_ge_u32 s40, s0
	s_cselect_b32 s0, -1, 0
	s_cmp_eq_u32 s41, s1
	s_cselect_b32 s0, s0, s42
	s_delay_alu instid0(SALU_CYCLE_1) | instskip(SKIP_3) | instid1(SALU_CYCLE_1)
	s_cmp_lg_u32 s0, 0
	s_cselect_b32 s1, s44, s39
	s_cselect_b32 s0, s43, s23
	s_xor_b64 s[24:25], s[24:25], s[2:3]
	s_xor_b64 s[40:41], s[0:1], s[24:25]
	s_delay_alu instid0(SALU_CYCLE_1)
	s_sub_u32 s24, s40, s24
	s_subb_u32 s25, s41, s25
	s_cbranch_execnz .LBB0_17
.LBB0_16:                               ;   in Loop: Header=BB0_14 Depth=2
	v_readfirstlane_b32 s0, v14
	s_sub_i32 s1, 0, s8
	s_mov_b32 s25, s22
	s_delay_alu instid0(VALU_DEP_1) | instskip(NEXT) | instid1(SALU_CYCLE_1)
	s_mul_i32 s1, s1, s0
	s_mul_hi_u32 s1, s0, s1
	s_delay_alu instid0(SALU_CYCLE_1) | instskip(NEXT) | instid1(SALU_CYCLE_1)
	s_add_i32 s0, s0, s1
	s_mul_hi_u32 s0, s16, s0
	s_delay_alu instid0(SALU_CYCLE_1) | instskip(SKIP_2) | instid1(SALU_CYCLE_1)
	s_mul_i32 s1, s0, s8
	s_add_i32 s3, s0, 1
	s_sub_i32 s1, s16, s1
	s_sub_i32 s23, s1, s8
	s_cmp_ge_u32 s1, s8
	s_cselect_b32 s0, s3, s0
	s_cselect_b32 s1, s23, s1
	s_add_i32 s3, s0, 1
	s_cmp_ge_u32 s1, s8
	s_cselect_b32 s24, s3, s0
.LBB0_17:                               ;   in Loop: Header=BB0_14 Depth=2
	s_mul_i32 s0, s36, s25
	s_mul_hi_u32 s1, s36, s24
	s_mul_i32 s3, s36, s24
	s_add_i32 s0, s1, s0
	s_mul_i32 s1, s37, s24
	v_mov_b32_e32 v15, 0
	s_add_i32 s0, s0, s1
	s_add_u32 s1, s16, s3
	s_addc_u32 s0, s17, s0
	v_mad_u64_u32 v[11:12], null, s1, s34, v[5:6]
	s_mul_i32 s1, s1, s33
	s_mul_i32 s0, s0, s34
	s_delay_alu instid0(VALU_DEP_1) | instid1(SALU_CYCLE_1)
	v_add3_u32 v12, s1, s0, v12
	s_delay_alu instid0(VALU_DEP_1) | instskip(SKIP_1) | instid1(VALU_DEP_1)
	v_cmp_lt_i64_e32 vcc_lo, -1, v[11:12]
	v_cmp_gt_i64_e64 s0, s[6:7], v[11:12]
	s_and_b32 s0, vcc_lo, s0
	s_delay_alu instid0(SALU_CYCLE_1) | instskip(NEXT) | instid1(SALU_CYCLE_1)
	s_and_b32 s1, s0, s38
	s_and_saveexec_b32 s0, s1
	s_cbranch_execz .LBB0_13
; %bb.18:                               ;   in Loop: Header=BB0_14 Depth=2
	v_mul_lo_u32 v12, v12, s4
	v_mul_lo_u32 v17, v11, s5
	v_mad_u64_u32 v[15:16], null, v11, s4, 0
	s_mul_i32 s1, s24, s19
	s_mul_hi_u32 s3, s24, s18
	s_mul_i32 s23, s25, s18
	s_add_i32 s1, s3, s1
	s_mul_i32 s24, s24, s18
	s_add_i32 s25, s1, s23
	s_delay_alu instid0(VALU_DEP_1) | instskip(SKIP_1) | instid1(VALU_DEP_1)
	v_add3_u32 v16, v16, v17, v12
	s_lshl_b64 s[24:25], s[24:25], 2
	v_lshlrev_b64 v[11:12], 2, v[15:16]
	v_add_co_u32 v15, vcc_lo, v2, s24
	v_add_co_ci_u32_e32 v16, vcc_lo, s25, v13, vcc_lo
	s_delay_alu instid0(VALU_DEP_2) | instskip(NEXT) | instid1(VALU_DEP_2)
	v_add_co_u32 v11, vcc_lo, v15, v11
	v_add_co_ci_u32_e32 v12, vcc_lo, v16, v12, vcc_lo
	s_delay_alu instid0(VALU_DEP_2) | instskip(NEXT) | instid1(VALU_DEP_2)
	v_add_co_u32 v11, vcc_lo, v11, v7
	v_add_co_ci_u32_e32 v12, vcc_lo, v12, v8, vcc_lo
	global_load_b32 v11, v[11:12], off
	s_waitcnt vmcnt(0)
	v_cvt_f16_f32_e32 v15, v11
	s_branch .LBB0_13
.LBB0_19:                               ;   in Loop: Header=BB0_14 Depth=2
                                        ; implicit-def: $sgpr24_sgpr25
	s_branch .LBB0_16
.LBB0_20:
	s_nop 0
	s_sendmsg sendmsg(MSG_DEALLOC_VGPRS)
	s_endpgm
.LBB0_21:
                                        ; implicit-def: $vgpr5_vgpr6
	s_branch .LBB0_4
	.section	.rodata,"a",@progbits
	.p2align	6, 0x0
	.amdhsa_kernel _ZL13im2col_kernelI6__halfEvPKfPT_lllllllllllliiiiii
		.amdhsa_group_segment_fixed_size 0
		.amdhsa_private_segment_fixed_size 0
		.amdhsa_kernarg_size 392
		.amdhsa_user_sgpr_count 13
		.amdhsa_user_sgpr_dispatch_ptr 0
		.amdhsa_user_sgpr_queue_ptr 0
		.amdhsa_user_sgpr_kernarg_segment_ptr 1
		.amdhsa_user_sgpr_dispatch_id 0
		.amdhsa_user_sgpr_private_segment_size 0
		.amdhsa_wavefront_size32 1
		.amdhsa_uses_dynamic_stack 0
		.amdhsa_enable_private_segment 0
		.amdhsa_system_sgpr_workgroup_id_x 1
		.amdhsa_system_sgpr_workgroup_id_y 1
		.amdhsa_system_sgpr_workgroup_id_z 1
		.amdhsa_system_sgpr_workgroup_info 0
		.amdhsa_system_vgpr_workitem_id 0
		.amdhsa_next_free_vgpr 18
		.amdhsa_next_free_sgpr 48
		.amdhsa_reserve_vcc 1
		.amdhsa_float_round_mode_32 0
		.amdhsa_float_round_mode_16_64 0
		.amdhsa_float_denorm_mode_32 3
		.amdhsa_float_denorm_mode_16_64 3
		.amdhsa_dx10_clamp 1
		.amdhsa_ieee_mode 1
		.amdhsa_fp16_overflow 0
		.amdhsa_workgroup_processor_mode 1
		.amdhsa_memory_ordered 1
		.amdhsa_forward_progress 0
		.amdhsa_shared_vgpr_count 0
		.amdhsa_exception_fp_ieee_invalid_op 0
		.amdhsa_exception_fp_denorm_src 0
		.amdhsa_exception_fp_ieee_div_zero 0
		.amdhsa_exception_fp_ieee_overflow 0
		.amdhsa_exception_fp_ieee_underflow 0
		.amdhsa_exception_fp_ieee_inexact 0
		.amdhsa_exception_int_div_zero 0
	.end_amdhsa_kernel
	.section	.text._ZL13im2col_kernelI6__halfEvPKfPT_lllllllllllliiiiii,"axG",@progbits,_ZL13im2col_kernelI6__halfEvPKfPT_lllllllllllliiiiii,comdat
.Lfunc_end0:
	.size	_ZL13im2col_kernelI6__halfEvPKfPT_lllllllllllliiiiii, .Lfunc_end0-_ZL13im2col_kernelI6__halfEvPKfPT_lllllllllllliiiiii
                                        ; -- End function
	.section	.AMDGPU.csdata,"",@progbits
; Kernel info:
; codeLenInByte = 3736
; NumSgprs: 50
; NumVgprs: 18
; ScratchSize: 0
; MemoryBound: 0
; FloatMode: 240
; IeeeMode: 1
; LDSByteSize: 0 bytes/workgroup (compile time only)
; SGPRBlocks: 6
; VGPRBlocks: 2
; NumSGPRsForWavesPerEU: 50
; NumVGPRsForWavesPerEU: 18
; Occupancy: 16
; WaveLimiterHint : 1
; COMPUTE_PGM_RSRC2:SCRATCH_EN: 0
; COMPUTE_PGM_RSRC2:USER_SGPR: 13
; COMPUTE_PGM_RSRC2:TRAP_HANDLER: 0
; COMPUTE_PGM_RSRC2:TGID_X_EN: 1
; COMPUTE_PGM_RSRC2:TGID_Y_EN: 1
; COMPUTE_PGM_RSRC2:TGID_Z_EN: 1
; COMPUTE_PGM_RSRC2:TIDIG_COMP_CNT: 0
	.section	.text._ZL13im2col_kernelIfEvPKfPT_lllllllllllliiiiii,"axG",@progbits,_ZL13im2col_kernelIfEvPKfPT_lllllllllllliiiiii,comdat
	.globl	_ZL13im2col_kernelIfEvPKfPT_lllllllllllliiiiii ; -- Begin function _ZL13im2col_kernelIfEvPKfPT_lllllllllllliiiiii
	.p2align	8
	.type	_ZL13im2col_kernelIfEvPKfPT_lllllllllllliiiiii,@function
_ZL13im2col_kernelIfEvPKfPT_lllllllllllliiiiii: ; @_ZL13im2col_kernelIfEvPKfPT_lllllllllllliiiiii
; %bb.0:
	s_clause 0x1
	s_load_b32 s2, s[0:1], 0x94
	s_load_b64 s[28:29], s[0:1], 0x68
	s_waitcnt lgkmcnt(0)
	s_and_b32 s2, s2, 0xffff
	s_delay_alu instid0(SALU_CYCLE_1) | instskip(SKIP_2) | instid1(VALU_DEP_1)
	v_mad_u64_u32 v[1:2], null, s13, s2, v[0:1]
	v_mov_b32_e32 v2, 0
	s_mov_b32 s2, exec_lo
	v_cmpx_gt_i64_e64 s[28:29], v[1:2]
	s_cbranch_execz .LBB1_20
; %bb.1:
	s_load_b256 s[4:11], s[0:1], 0x18
	s_mov_b32 s12, s15
	s_mov_b32 s15, 0
	s_waitcnt lgkmcnt(0)
	v_cmp_ge_i64_e64 s2, s[14:15], s[10:11]
	s_delay_alu instid0(VALU_DEP_1)
	s_and_b32 vcc_lo, exec_lo, s2
	s_cbranch_vccnz .LBB1_20
; %bb.2:
	s_clause 0x1
	s_load_b256 s[16:23], s[0:1], 0x48
	s_load_b64 s[30:31], s[0:1], 0x38
	s_mov_b32 s2, s15
	s_waitcnt lgkmcnt(0)
	s_mov_b32 s3, s23
	s_delay_alu instid0(SALU_CYCLE_1)
	s_cmp_lg_u64 s[2:3], 0
	s_cbranch_scc0 .LBB1_21
; %bb.3:
	s_ashr_i32 s24, s23, 31
	s_delay_alu instid0(SALU_CYCLE_1) | instskip(SKIP_2) | instid1(SALU_CYCLE_1)
	s_add_u32 s2, s22, s24
	s_mov_b32 s25, s24
	s_addc_u32 s3, s23, s24
	s_xor_b64 s[26:27], s[2:3], s[24:25]
	s_delay_alu instid0(SALU_CYCLE_1) | instskip(SKIP_3) | instid1(VALU_DEP_1)
	v_cvt_f32_u32_e32 v0, s26
	v_cvt_f32_u32_e32 v3, s27
	s_sub_u32 s2, 0, s26
	s_subb_u32 s3, 0, s27
	v_fmamk_f32 v0, v3, 0x4f800000, v0
	s_delay_alu instid0(VALU_DEP_1) | instskip(SKIP_2) | instid1(VALU_DEP_1)
	v_rcp_f32_e32 v0, v0
	s_waitcnt_depctr 0xfff
	v_mul_f32_e32 v0, 0x5f7ffffc, v0
	v_mul_f32_e32 v3, 0x2f800000, v0
	s_delay_alu instid0(VALU_DEP_1) | instskip(NEXT) | instid1(VALU_DEP_1)
	v_trunc_f32_e32 v3, v3
	v_fmamk_f32 v0, v3, 0xcf800000, v0
	v_cvt_u32_f32_e32 v3, v3
	s_delay_alu instid0(VALU_DEP_2) | instskip(NEXT) | instid1(VALU_DEP_2)
	v_cvt_u32_f32_e32 v0, v0
	v_mul_lo_u32 v4, s2, v3
	s_delay_alu instid0(VALU_DEP_2) | instskip(SKIP_1) | instid1(VALU_DEP_2)
	v_mul_hi_u32 v5, s2, v0
	v_mul_lo_u32 v6, s3, v0
	v_add_nc_u32_e32 v4, v5, v4
	v_mul_lo_u32 v5, s2, v0
	s_delay_alu instid0(VALU_DEP_2) | instskip(NEXT) | instid1(VALU_DEP_2)
	v_add_nc_u32_e32 v4, v4, v6
	v_mul_hi_u32 v6, v0, v5
	s_delay_alu instid0(VALU_DEP_2)
	v_mul_lo_u32 v7, v0, v4
	v_mul_hi_u32 v8, v0, v4
	v_mul_hi_u32 v9, v3, v5
	v_mul_lo_u32 v5, v3, v5
	v_mul_hi_u32 v10, v3, v4
	v_mul_lo_u32 v4, v3, v4
	v_add_co_u32 v6, vcc_lo, v6, v7
	v_add_co_ci_u32_e32 v7, vcc_lo, 0, v8, vcc_lo
	s_delay_alu instid0(VALU_DEP_2) | instskip(NEXT) | instid1(VALU_DEP_2)
	v_add_co_u32 v5, vcc_lo, v6, v5
	v_add_co_ci_u32_e32 v5, vcc_lo, v7, v9, vcc_lo
	v_add_co_ci_u32_e32 v6, vcc_lo, 0, v10, vcc_lo
	s_delay_alu instid0(VALU_DEP_2) | instskip(NEXT) | instid1(VALU_DEP_2)
	v_add_co_u32 v4, vcc_lo, v5, v4
	v_add_co_ci_u32_e32 v5, vcc_lo, 0, v6, vcc_lo
	s_delay_alu instid0(VALU_DEP_2) | instskip(NEXT) | instid1(VALU_DEP_2)
	v_add_co_u32 v0, vcc_lo, v0, v4
	v_add_co_ci_u32_e32 v3, vcc_lo, v3, v5, vcc_lo
	s_delay_alu instid0(VALU_DEP_2) | instskip(SKIP_1) | instid1(VALU_DEP_3)
	v_mul_hi_u32 v4, s2, v0
	v_mul_lo_u32 v6, s3, v0
	v_mul_lo_u32 v5, s2, v3
	s_delay_alu instid0(VALU_DEP_1) | instskip(SKIP_1) | instid1(VALU_DEP_2)
	v_add_nc_u32_e32 v4, v4, v5
	v_mul_lo_u32 v5, s2, v0
	v_add_nc_u32_e32 v4, v4, v6
	s_delay_alu instid0(VALU_DEP_2) | instskip(NEXT) | instid1(VALU_DEP_2)
	v_mul_hi_u32 v6, v0, v5
	v_mul_lo_u32 v7, v0, v4
	v_mul_hi_u32 v8, v0, v4
	v_mul_hi_u32 v9, v3, v5
	v_mul_lo_u32 v5, v3, v5
	v_mul_hi_u32 v10, v3, v4
	v_mul_lo_u32 v4, v3, v4
	v_add_co_u32 v6, vcc_lo, v6, v7
	v_add_co_ci_u32_e32 v7, vcc_lo, 0, v8, vcc_lo
	s_delay_alu instid0(VALU_DEP_2) | instskip(NEXT) | instid1(VALU_DEP_2)
	v_add_co_u32 v5, vcc_lo, v6, v5
	v_add_co_ci_u32_e32 v5, vcc_lo, v7, v9, vcc_lo
	v_add_co_ci_u32_e32 v6, vcc_lo, 0, v10, vcc_lo
	s_delay_alu instid0(VALU_DEP_2) | instskip(NEXT) | instid1(VALU_DEP_2)
	v_add_co_u32 v4, vcc_lo, v5, v4
	v_add_co_ci_u32_e32 v5, vcc_lo, 0, v6, vcc_lo
	s_delay_alu instid0(VALU_DEP_2) | instskip(NEXT) | instid1(VALU_DEP_2)
	v_add_co_u32 v0, vcc_lo, v0, v4
	v_add_co_ci_u32_e32 v9, vcc_lo, v3, v5, vcc_lo
	s_delay_alu instid0(VALU_DEP_2) | instskip(SKIP_1) | instid1(VALU_DEP_3)
	v_mul_hi_u32 v10, v1, v0
	v_mad_u64_u32 v[5:6], null, 0, v0, 0
	v_mad_u64_u32 v[3:4], null, v1, v9, 0
	;; [unrolled: 1-line block ×3, first 2 shown]
	s_delay_alu instid0(VALU_DEP_2) | instskip(NEXT) | instid1(VALU_DEP_3)
	v_add_co_u32 v0, vcc_lo, v10, v3
	v_add_co_ci_u32_e32 v3, vcc_lo, 0, v4, vcc_lo
	s_delay_alu instid0(VALU_DEP_2) | instskip(NEXT) | instid1(VALU_DEP_2)
	v_add_co_u32 v0, vcc_lo, v0, v5
	v_add_co_ci_u32_e32 v0, vcc_lo, v3, v6, vcc_lo
	v_add_co_ci_u32_e32 v3, vcc_lo, 0, v8, vcc_lo
	s_delay_alu instid0(VALU_DEP_2) | instskip(NEXT) | instid1(VALU_DEP_2)
	v_add_co_u32 v0, vcc_lo, v0, v7
	v_add_co_ci_u32_e32 v5, vcc_lo, 0, v3, vcc_lo
	s_delay_alu instid0(VALU_DEP_2) | instskip(SKIP_1) | instid1(VALU_DEP_3)
	v_mul_lo_u32 v6, s27, v0
	v_mad_u64_u32 v[3:4], null, s26, v0, 0
	v_mul_lo_u32 v7, s26, v5
	s_delay_alu instid0(VALU_DEP_2) | instskip(NEXT) | instid1(VALU_DEP_2)
	v_sub_co_u32 v3, vcc_lo, v1, v3
	v_add3_u32 v4, v4, v7, v6
	s_delay_alu instid0(VALU_DEP_1) | instskip(NEXT) | instid1(VALU_DEP_1)
	v_sub_nc_u32_e32 v6, 0, v4
	v_subrev_co_ci_u32_e64 v6, s2, s27, v6, vcc_lo
	v_add_co_u32 v7, s2, v0, 2
	s_delay_alu instid0(VALU_DEP_1) | instskip(SKIP_3) | instid1(VALU_DEP_3)
	v_add_co_ci_u32_e64 v8, s2, 0, v5, s2
	v_sub_co_u32 v9, s2, v3, s26
	v_sub_co_ci_u32_e32 v4, vcc_lo, 0, v4, vcc_lo
	v_subrev_co_ci_u32_e64 v6, s2, 0, v6, s2
	v_cmp_le_u32_e32 vcc_lo, s26, v9
	s_delay_alu instid0(VALU_DEP_3) | instskip(SKIP_1) | instid1(VALU_DEP_4)
	v_cmp_eq_u32_e64 s2, s27, v4
	v_cndmask_b32_e64 v9, 0, -1, vcc_lo
	v_cmp_le_u32_e32 vcc_lo, s27, v6
	v_cndmask_b32_e64 v10, 0, -1, vcc_lo
	v_cmp_le_u32_e32 vcc_lo, s26, v3
	;; [unrolled: 2-line block ×3, first 2 shown]
	v_cndmask_b32_e64 v11, 0, -1, vcc_lo
	v_cmp_eq_u32_e32 vcc_lo, s27, v6
	s_delay_alu instid0(VALU_DEP_2) | instskip(SKIP_3) | instid1(VALU_DEP_3)
	v_cndmask_b32_e64 v3, v11, v3, s2
	v_cndmask_b32_e32 v6, v10, v9, vcc_lo
	v_add_co_u32 v9, vcc_lo, v0, 1
	v_add_co_ci_u32_e32 v10, vcc_lo, 0, v5, vcc_lo
	v_cmp_ne_u32_e32 vcc_lo, 0, v6
	s_delay_alu instid0(VALU_DEP_2) | instskip(NEXT) | instid1(VALU_DEP_4)
	v_cndmask_b32_e32 v4, v10, v8, vcc_lo
	v_cndmask_b32_e32 v6, v9, v7, vcc_lo
	v_cmp_ne_u32_e32 vcc_lo, 0, v3
	s_delay_alu instid0(VALU_DEP_2) | instskip(NEXT) | instid1(VALU_DEP_1)
	v_dual_cndmask_b32 v0, v0, v6 :: v_dual_cndmask_b32 v3, v5, v4
	v_xor_b32_e32 v0, s24, v0
	s_delay_alu instid0(VALU_DEP_2) | instskip(NEXT) | instid1(VALU_DEP_2)
	v_xor_b32_e32 v3, s24, v3
	v_sub_co_u32 v5, vcc_lo, v0, s24
	s_delay_alu instid0(VALU_DEP_2)
	v_subrev_co_ci_u32_e32 v6, vcc_lo, s24, v3, vcc_lo
	s_cbranch_execnz .LBB1_5
.LBB1_4:
	v_cvt_f32_u32_e32 v0, s22
	s_sub_i32 s2, 0, s22
	v_mov_b32_e32 v6, 0
	s_delay_alu instid0(VALU_DEP_2) | instskip(SKIP_2) | instid1(VALU_DEP_1)
	v_rcp_iflag_f32_e32 v0, v0
	s_waitcnt_depctr 0xfff
	v_mul_f32_e32 v0, 0x4f7ffffe, v0
	v_cvt_u32_f32_e32 v0, v0
	s_delay_alu instid0(VALU_DEP_1) | instskip(NEXT) | instid1(VALU_DEP_1)
	v_mul_lo_u32 v3, s2, v0
	v_mul_hi_u32 v3, v0, v3
	s_delay_alu instid0(VALU_DEP_1) | instskip(NEXT) | instid1(VALU_DEP_1)
	v_add_nc_u32_e32 v0, v0, v3
	v_mul_hi_u32 v0, v1, v0
	s_delay_alu instid0(VALU_DEP_1) | instskip(SKIP_1) | instid1(VALU_DEP_2)
	v_mul_lo_u32 v3, v0, s22
	v_add_nc_u32_e32 v4, 1, v0
	v_sub_nc_u32_e32 v3, v1, v3
	s_delay_alu instid0(VALU_DEP_1) | instskip(SKIP_1) | instid1(VALU_DEP_2)
	v_subrev_nc_u32_e32 v5, s22, v3
	v_cmp_le_u32_e32 vcc_lo, s22, v3
	v_dual_cndmask_b32 v3, v3, v5 :: v_dual_cndmask_b32 v0, v0, v4
	s_delay_alu instid0(VALU_DEP_1) | instskip(NEXT) | instid1(VALU_DEP_2)
	v_cmp_le_u32_e32 vcc_lo, s22, v3
	v_add_nc_u32_e32 v4, 1, v0
	s_delay_alu instid0(VALU_DEP_1)
	v_cndmask_b32_e32 v5, v0, v4, vcc_lo
.LBB1_5:
	s_delay_alu instid0(VALU_DEP_1) | instskip(NEXT) | instid1(VALU_DEP_2)
	v_mul_lo_u32 v0, v6, s22
	v_mul_lo_u32 v7, v5, s23
	v_mad_u64_u32 v[3:4], null, v5, s22, 0
	s_delay_alu instid0(VALU_DEP_1) | instskip(NEXT) | instid1(VALU_DEP_2)
	v_add3_u32 v4, v4, v7, v0
	v_sub_co_u32 v0, vcc_lo, v1, v3
	v_mov_b32_e32 v3, 0
	s_delay_alu instid0(VALU_DEP_3) | instskip(NEXT) | instid1(VALU_DEP_1)
	v_sub_co_ci_u32_e32 v7, vcc_lo, 0, v4, vcc_lo
	v_or_b32_e32 v4, s31, v7
	s_delay_alu instid0(VALU_DEP_1) | instskip(SKIP_1) | instid1(SALU_CYCLE_1)
	v_cmp_ne_u64_e32 vcc_lo, 0, v[3:4]
                                        ; implicit-def: $vgpr3_vgpr4
	s_and_saveexec_b32 s2, vcc_lo
	s_xor_b32 s3, exec_lo, s2
	s_cbranch_execz .LBB1_7
; %bb.6:
	s_ashr_i32 s22, s31, 31
	s_delay_alu instid0(SALU_CYCLE_1) | instskip(SKIP_2) | instid1(SALU_CYCLE_1)
	s_add_u32 s24, s30, s22
	s_mov_b32 s23, s22
	s_addc_u32 s25, s31, s22
	s_xor_b64 s[24:25], s[24:25], s[22:23]
	s_delay_alu instid0(SALU_CYCLE_1) | instskip(SKIP_3) | instid1(VALU_DEP_1)
	v_cvt_f32_u32_e32 v3, s24
	v_cvt_f32_u32_e32 v4, s25
	s_sub_u32 s2, 0, s24
	s_subb_u32 s13, 0, s25
	v_fmamk_f32 v3, v4, 0x4f800000, v3
	s_delay_alu instid0(VALU_DEP_1) | instskip(SKIP_2) | instid1(VALU_DEP_1)
	v_rcp_f32_e32 v3, v3
	s_waitcnt_depctr 0xfff
	v_mul_f32_e32 v3, 0x5f7ffffc, v3
	v_mul_f32_e32 v4, 0x2f800000, v3
	s_delay_alu instid0(VALU_DEP_1) | instskip(NEXT) | instid1(VALU_DEP_1)
	v_trunc_f32_e32 v4, v4
	v_fmamk_f32 v3, v4, 0xcf800000, v3
	v_cvt_u32_f32_e32 v4, v4
	s_delay_alu instid0(VALU_DEP_2) | instskip(NEXT) | instid1(VALU_DEP_2)
	v_cvt_u32_f32_e32 v3, v3
	v_mul_lo_u32 v8, s2, v4
	s_delay_alu instid0(VALU_DEP_2) | instskip(SKIP_1) | instid1(VALU_DEP_2)
	v_mul_hi_u32 v9, s2, v3
	v_mul_lo_u32 v10, s13, v3
	v_add_nc_u32_e32 v8, v9, v8
	v_mul_lo_u32 v9, s2, v3
	s_delay_alu instid0(VALU_DEP_2) | instskip(NEXT) | instid1(VALU_DEP_2)
	v_add_nc_u32_e32 v8, v8, v10
	v_mul_hi_u32 v10, v3, v9
	s_delay_alu instid0(VALU_DEP_2)
	v_mul_lo_u32 v11, v3, v8
	v_mul_hi_u32 v12, v3, v8
	v_mul_hi_u32 v13, v4, v9
	v_mul_lo_u32 v9, v4, v9
	v_mul_hi_u32 v14, v4, v8
	v_mul_lo_u32 v8, v4, v8
	v_add_co_u32 v10, vcc_lo, v10, v11
	v_add_co_ci_u32_e32 v11, vcc_lo, 0, v12, vcc_lo
	s_delay_alu instid0(VALU_DEP_2) | instskip(NEXT) | instid1(VALU_DEP_2)
	v_add_co_u32 v9, vcc_lo, v10, v9
	v_add_co_ci_u32_e32 v9, vcc_lo, v11, v13, vcc_lo
	v_add_co_ci_u32_e32 v10, vcc_lo, 0, v14, vcc_lo
	v_ashrrev_i32_e32 v13, 31, v7
	s_delay_alu instid0(VALU_DEP_3) | instskip(NEXT) | instid1(VALU_DEP_3)
	v_add_co_u32 v8, vcc_lo, v9, v8
	v_add_co_ci_u32_e32 v9, vcc_lo, 0, v10, vcc_lo
	s_delay_alu instid0(VALU_DEP_2) | instskip(NEXT) | instid1(VALU_DEP_2)
	v_add_co_u32 v3, vcc_lo, v3, v8
	v_add_co_ci_u32_e32 v4, vcc_lo, v4, v9, vcc_lo
	s_delay_alu instid0(VALU_DEP_2) | instskip(SKIP_1) | instid1(VALU_DEP_3)
	v_mul_hi_u32 v8, s2, v3
	v_mul_lo_u32 v10, s13, v3
	v_mul_lo_u32 v9, s2, v4
	s_delay_alu instid0(VALU_DEP_1) | instskip(SKIP_1) | instid1(VALU_DEP_2)
	v_add_nc_u32_e32 v8, v8, v9
	v_mul_lo_u32 v9, s2, v3
	v_add_nc_u32_e32 v8, v8, v10
	s_delay_alu instid0(VALU_DEP_2) | instskip(NEXT) | instid1(VALU_DEP_2)
	v_mul_hi_u32 v10, v3, v9
	v_mul_lo_u32 v11, v3, v8
	v_mul_hi_u32 v12, v3, v8
	v_mul_hi_u32 v14, v4, v9
	v_mul_lo_u32 v9, v4, v9
	v_mul_hi_u32 v15, v4, v8
	v_mul_lo_u32 v8, v4, v8
	v_add_co_u32 v10, vcc_lo, v10, v11
	v_add_co_ci_u32_e32 v11, vcc_lo, 0, v12, vcc_lo
	s_delay_alu instid0(VALU_DEP_2) | instskip(NEXT) | instid1(VALU_DEP_2)
	v_add_co_u32 v9, vcc_lo, v10, v9
	v_add_co_ci_u32_e32 v9, vcc_lo, v11, v14, vcc_lo
	v_add_co_ci_u32_e32 v10, vcc_lo, 0, v15, vcc_lo
	v_add_co_u32 v11, vcc_lo, v0, v13
	v_add_co_ci_u32_e32 v12, vcc_lo, v7, v13, vcc_lo
	s_delay_alu instid0(VALU_DEP_4) | instskip(NEXT) | instid1(VALU_DEP_4)
	v_add_co_u32 v8, vcc_lo, v9, v8
	v_add_co_ci_u32_e32 v9, vcc_lo, 0, v10, vcc_lo
	s_delay_alu instid0(VALU_DEP_4) | instskip(NEXT) | instid1(VALU_DEP_3)
	v_xor_b32_e32 v14, v11, v13
	v_add_co_u32 v10, vcc_lo, v3, v8
	s_delay_alu instid0(VALU_DEP_3) | instskip(SKIP_1) | instid1(VALU_DEP_3)
	v_add_co_ci_u32_e32 v15, vcc_lo, v4, v9, vcc_lo
	v_xor_b32_e32 v12, v12, v13
	v_mul_hi_u32 v16, v14, v10
	s_delay_alu instid0(VALU_DEP_3) | instskip(NEXT) | instid1(VALU_DEP_3)
	v_mad_u64_u32 v[3:4], null, v14, v15, 0
	v_mad_u64_u32 v[8:9], null, v12, v10, 0
	;; [unrolled: 1-line block ×3, first 2 shown]
	s_delay_alu instid0(VALU_DEP_3) | instskip(NEXT) | instid1(VALU_DEP_4)
	v_add_co_u32 v3, vcc_lo, v16, v3
	v_add_co_ci_u32_e32 v4, vcc_lo, 0, v4, vcc_lo
	s_delay_alu instid0(VALU_DEP_2) | instskip(NEXT) | instid1(VALU_DEP_2)
	v_add_co_u32 v3, vcc_lo, v3, v8
	v_add_co_ci_u32_e32 v3, vcc_lo, v4, v9, vcc_lo
	v_add_co_ci_u32_e32 v4, vcc_lo, 0, v11, vcc_lo
	s_delay_alu instid0(VALU_DEP_2) | instskip(NEXT) | instid1(VALU_DEP_2)
	v_add_co_u32 v8, vcc_lo, v3, v10
	v_add_co_ci_u32_e32 v9, vcc_lo, 0, v4, vcc_lo
	s_delay_alu instid0(VALU_DEP_2) | instskip(SKIP_1) | instid1(VALU_DEP_3)
	v_mul_lo_u32 v10, s25, v8
	v_mad_u64_u32 v[3:4], null, s24, v8, 0
	v_mul_lo_u32 v11, s24, v9
	s_delay_alu instid0(VALU_DEP_2) | instskip(NEXT) | instid1(VALU_DEP_2)
	v_sub_co_u32 v3, vcc_lo, v14, v3
	v_add3_u32 v4, v4, v11, v10
	s_delay_alu instid0(VALU_DEP_1) | instskip(NEXT) | instid1(VALU_DEP_1)
	v_sub_nc_u32_e32 v10, v12, v4
	v_subrev_co_ci_u32_e64 v10, s2, s25, v10, vcc_lo
	v_add_co_u32 v11, s2, v8, 2
	s_delay_alu instid0(VALU_DEP_1) | instskip(SKIP_3) | instid1(VALU_DEP_3)
	v_add_co_ci_u32_e64 v14, s2, 0, v9, s2
	v_sub_co_u32 v15, s2, v3, s24
	v_sub_co_ci_u32_e32 v4, vcc_lo, v12, v4, vcc_lo
	v_subrev_co_ci_u32_e64 v10, s2, 0, v10, s2
	v_cmp_le_u32_e32 vcc_lo, s24, v15
	s_delay_alu instid0(VALU_DEP_3) | instskip(SKIP_1) | instid1(VALU_DEP_4)
	v_cmp_eq_u32_e64 s2, s25, v4
	v_cndmask_b32_e64 v12, 0, -1, vcc_lo
	v_cmp_le_u32_e32 vcc_lo, s25, v10
	v_cndmask_b32_e64 v15, 0, -1, vcc_lo
	v_cmp_le_u32_e32 vcc_lo, s24, v3
	;; [unrolled: 2-line block ×3, first 2 shown]
	v_cndmask_b32_e64 v16, 0, -1, vcc_lo
	v_cmp_eq_u32_e32 vcc_lo, s25, v10
	s_delay_alu instid0(VALU_DEP_2) | instskip(SKIP_3) | instid1(VALU_DEP_3)
	v_cndmask_b32_e64 v3, v16, v3, s2
	v_cndmask_b32_e32 v10, v15, v12, vcc_lo
	v_add_co_u32 v12, vcc_lo, v8, 1
	v_add_co_ci_u32_e32 v15, vcc_lo, 0, v9, vcc_lo
	v_cmp_ne_u32_e32 vcc_lo, 0, v10
	s_delay_alu instid0(VALU_DEP_2) | instskip(NEXT) | instid1(VALU_DEP_4)
	v_cndmask_b32_e32 v4, v15, v14, vcc_lo
	v_cndmask_b32_e32 v10, v12, v11, vcc_lo
	v_cmp_ne_u32_e32 vcc_lo, 0, v3
	v_xor_b32_e32 v11, s22, v13
	s_delay_alu instid0(VALU_DEP_3) | instskip(NEXT) | instid1(VALU_DEP_1)
	v_dual_cndmask_b32 v3, v9, v4 :: v_dual_cndmask_b32 v4, v8, v10
	v_xor_b32_e32 v8, v3, v11
	s_delay_alu instid0(VALU_DEP_2) | instskip(NEXT) | instid1(VALU_DEP_1)
	v_xor_b32_e32 v4, v4, v11
	v_sub_co_u32 v3, vcc_lo, v4, v11
	s_delay_alu instid0(VALU_DEP_3)
	v_sub_co_ci_u32_e32 v4, vcc_lo, v8, v11, vcc_lo
.LBB1_7:
	s_and_not1_saveexec_b32 s2, s3
	s_cbranch_execz .LBB1_9
; %bb.8:
	v_cvt_f32_u32_e32 v3, s30
	s_sub_i32 s3, 0, s30
	s_delay_alu instid0(VALU_DEP_1) | instskip(SKIP_2) | instid1(VALU_DEP_1)
	v_rcp_iflag_f32_e32 v3, v3
	s_waitcnt_depctr 0xfff
	v_mul_f32_e32 v3, 0x4f7ffffe, v3
	v_cvt_u32_f32_e32 v3, v3
	s_delay_alu instid0(VALU_DEP_1) | instskip(NEXT) | instid1(VALU_DEP_1)
	v_mul_lo_u32 v4, s3, v3
	v_mul_hi_u32 v4, v3, v4
	s_delay_alu instid0(VALU_DEP_1) | instskip(NEXT) | instid1(VALU_DEP_1)
	v_add_nc_u32_e32 v3, v3, v4
	v_mul_hi_u32 v3, v0, v3
	s_delay_alu instid0(VALU_DEP_1) | instskip(SKIP_1) | instid1(VALU_DEP_2)
	v_mul_lo_u32 v4, v3, s30
	v_add_nc_u32_e32 v8, 1, v3
	v_sub_nc_u32_e32 v4, v0, v4
	s_delay_alu instid0(VALU_DEP_1) | instskip(SKIP_1) | instid1(VALU_DEP_2)
	v_subrev_nc_u32_e32 v9, s30, v4
	v_cmp_le_u32_e32 vcc_lo, s30, v4
	v_dual_cndmask_b32 v4, v4, v9 :: v_dual_cndmask_b32 v3, v3, v8
	s_delay_alu instid0(VALU_DEP_1) | instskip(SKIP_1) | instid1(VALU_DEP_3)
	v_cmp_le_u32_e32 vcc_lo, s30, v4
	v_mov_b32_e32 v4, 0
	v_add_nc_u32_e32 v8, 1, v3
	s_delay_alu instid0(VALU_DEP_1)
	v_cndmask_b32_e32 v3, v3, v8, vcc_lo
.LBB1_9:
	s_or_b32 exec_lo, exec_lo, s2
	s_clause 0x1
	s_load_b128 s[24:27], s[0:1], 0x70
	s_load_b64 s[34:35], s[0:1], 0x80
	v_mul_lo_u32 v10, v4, s30
	v_mul_lo_u32 v11, v3, s31
	v_mad_u64_u32 v[8:9], null, v3, s30, 0
	v_mul_lo_u32 v12, v6, s16
	s_load_b128 s[0:3], s[0:1], 0x0
	s_mov_b32 s22, 0
	s_delay_alu instid0(SALU_CYCLE_1) | instskip(NEXT) | instid1(VALU_DEP_2)
	s_mov_b32 s13, s22
	v_add3_u32 v6, v9, v11, v10
	s_delay_alu instid0(VALU_DEP_3) | instskip(SKIP_1) | instid1(VALU_DEP_3)
	v_sub_co_u32 v0, vcc_lo, v0, v8
	v_mul_lo_u32 v10, v5, s17
	v_sub_co_ci_u32_e32 v6, vcc_lo, v7, v6, vcc_lo
	s_waitcnt lgkmcnt(0)
	s_ashr_i32 s30, s24, 31
	s_ashr_i32 s17, s34, 31
	s_delay_alu instid0(VALU_DEP_1)
	v_mul_lo_u32 v11, v6, s34
	v_mad_u64_u32 v[6:7], null, v0, s34, 0
	v_mul_lo_u32 v0, v0, s17
	s_ashr_i32 s23, s35, 31
	v_mad_u64_u32 v[8:9], null, v3, s35, 0
	v_mul_lo_u32 v13, v4, s35
	s_ashr_i32 s17, s26, 31
	s_mov_b32 s31, s24
	s_mul_i32 s24, s10, s12
	s_delay_alu instid0(VALU_DEP_3) | instskip(SKIP_3) | instid1(VALU_DEP_4)
	v_add3_u32 v0, v7, v0, v11
	v_mul_lo_u32 v11, v3, s23
	v_sub_co_u32 v3, vcc_lo, v6, s26
	v_mad_u64_u32 v[6:7], null, v5, s16, 0
	v_subrev_co_ci_u32_e32 v4, vcc_lo, s17, v0, vcc_lo
	s_mul_i32 s16, s11, s12
	s_mul_hi_u32 s17, s10, s12
	s_ashr_i32 s33, s25, 31
	s_ashr_i32 s23, s27, 31
	s_delay_alu instid0(VALU_DEP_2)
	v_add3_u32 v7, v7, v10, v12
	s_add_i32 s17, s17, s16
	s_add_u32 s16, s24, s14
	v_add3_u32 v0, v9, v11, v13
	s_addc_u32 s17, s17, 0
	v_lshlrev_b64 v[9:10], 2, v[6:7]
	v_cvt_f32_u32_e32 v7, s8
	s_mul_i32 s17, s28, s17
	s_mul_hi_u32 s24, s28, s16
	v_sub_co_u32 v5, vcc_lo, v8, s27
	s_add_i32 s17, s24, s17
	s_mul_i32 s24, s29, s16
	v_rcp_iflag_f32_e32 v7, v7
	s_add_i32 s17, s17, s24
	s_mul_i32 s16, s28, s16
	v_subrev_co_ci_u32_e32 v6, vcc_lo, s23, v0, vcc_lo
	v_lshlrev_b64 v[0:1], 2, v[1:2]
	s_lshl_b64 s[16:17], s[16:17], 2
	v_add_co_u32 v2, vcc_lo, s0, v9
	s_add_u32 s0, s2, s16
	v_add_co_ci_u32_e32 v13, vcc_lo, s1, v10, vcc_lo
	s_addc_u32 s1, s3, s17
	v_add_co_u32 v0, vcc_lo, s0, v0
	v_add_co_ci_u32_e32 v1, vcc_lo, s1, v1, vcc_lo
	s_mul_i32 s0, s29, 0x3fffc
	s_mul_hi_u32 s1, s28, 0x3fffc
	s_mul_i32 s26, s28, 0x3fffc
	v_mul_f32_e32 v7, 0x4f7ffffe, v7
	s_add_i32 s27, s1, s0
	s_mul_i32 s0, s26, s11
	s_mul_hi_u32 s1, s26, s10
	s_mul_i32 s2, s27, s10
	s_add_i32 s0, s1, s0
	v_cmp_lt_i64_e64 s35, s[12:13], s[20:21]
	v_cvt_u32_f32_e32 v14, v7
	s_add_i32 s28, s0, s2
	s_sub_u32 s36, 0, s8
	s_mov_b32 s34, s25
	s_mul_i32 s29, s26, s10
	s_subb_u32 s37, 0, s9
	s_ashr_i32 s2, s9, 31
	s_branch .LBB1_11
.LBB1_10:                               ;   in Loop: Header=BB1_11 Depth=1
	s_add_u32 s14, s14, 0xffff
	s_addc_u32 s15, s15, 0
	v_add_co_u32 v0, vcc_lo, v0, s26
	v_cmp_ge_i64_e64 s0, s[14:15], s[10:11]
	v_add_co_ci_u32_e32 v1, vcc_lo, s27, v1, vcc_lo
	s_delay_alu instid0(VALU_DEP_2)
	s_and_b32 vcc_lo, exec_lo, s0
	s_cbranch_vccnz .LBB1_20
.LBB1_11:                               ; =>This Loop Header: Depth=1
                                        ;     Child Loop BB1_14 Depth 2
	s_and_not1_b32 vcc_lo, exec_lo, s35
	s_cbranch_vccnz .LBB1_10
; %bb.12:                               ;   in Loop: Header=BB1_11 Depth=1
	v_mad_u64_u32 v[7:8], null, s14, s31, v[3:4]
	s_mul_i32 s0, s15, s31
	s_mul_i32 s1, s14, s30
	v_dual_mov_b32 v10, v1 :: v_dual_mov_b32 v9, v0
	s_mov_b64 s[16:17], s[12:13]
	s_delay_alu instid0(VALU_DEP_2) | instskip(NEXT) | instid1(VALU_DEP_1)
	v_add3_u32 v8, s1, s0, v8
	v_cmp_lt_i64_e32 vcc_lo, -1, v[7:8]
	v_cmp_gt_i64_e64 s0, s[4:5], v[7:8]
	v_lshlrev_b64 v[7:8], 2, v[7:8]
	s_delay_alu instid0(VALU_DEP_2)
	s_and_b32 s38, vcc_lo, s0
	s_branch .LBB1_14
.LBB1_13:                               ;   in Loop: Header=BB1_14 Depth=2
	s_or_b32 exec_lo, exec_lo, s0
	s_add_u32 s16, s16, 0xffff
	s_addc_u32 s17, s17, 0
	s_waitcnt vmcnt(0)
	global_store_b32 v[9:10], v15, off
	v_cmp_ge_i64_e64 s0, s[16:17], s[20:21]
	v_add_co_u32 v9, vcc_lo, v9, s29
	v_add_co_ci_u32_e32 v10, vcc_lo, s28, v10, vcc_lo
	s_delay_alu instid0(VALU_DEP_3)
	s_and_b32 vcc_lo, exec_lo, s0
	s_cbranch_vccnz .LBB1_10
.LBB1_14:                               ;   Parent Loop BB1_11 Depth=1
                                        ; =>  This Inner Loop Header: Depth=2
	s_or_b64 s[0:1], s[16:17], s[8:9]
	s_delay_alu instid0(SALU_CYCLE_1) | instskip(NEXT) | instid1(SALU_CYCLE_1)
	s_mov_b32 s23, s1
	s_cmp_lg_u64 s[22:23], 0
	s_cbranch_scc0 .LBB1_19
; %bb.15:                               ;   in Loop: Header=BB1_14 Depth=2
	s_add_u32 s0, s8, s2
	s_mov_b32 s3, s2
	s_addc_u32 s1, s9, s2
	s_delay_alu instid0(SALU_CYCLE_1) | instskip(NEXT) | instid1(SALU_CYCLE_1)
	s_xor_b64 s[0:1], s[0:1], s[2:3]
	v_cvt_f32_u32_e32 v11, s0
	v_cvt_f32_u32_e32 v12, s1
	s_sub_u32 s25, 0, s0
	s_subb_u32 s39, 0, s1
	s_delay_alu instid0(VALU_DEP_1) | instskip(NEXT) | instid1(VALU_DEP_1)
	v_fmac_f32_e32 v11, 0x4f800000, v12
	v_rcp_f32_e32 v11, v11
	s_waitcnt_depctr 0xfff
	v_mul_f32_e32 v11, 0x5f7ffffc, v11
	s_delay_alu instid0(VALU_DEP_1) | instskip(NEXT) | instid1(VALU_DEP_1)
	v_mul_f32_e32 v12, 0x2f800000, v11
	v_trunc_f32_e32 v12, v12
	s_delay_alu instid0(VALU_DEP_1) | instskip(SKIP_1) | instid1(VALU_DEP_2)
	v_fmac_f32_e32 v11, 0xcf800000, v12
	v_cvt_u32_f32_e32 v12, v12
	v_cvt_u32_f32_e32 v11, v11
	s_delay_alu instid0(VALU_DEP_2) | instskip(NEXT) | instid1(VALU_DEP_2)
	v_readfirstlane_b32 s23, v12
	v_readfirstlane_b32 s24, v11
	s_delay_alu instid0(VALU_DEP_2) | instskip(NEXT) | instid1(VALU_DEP_1)
	s_mul_i32 s40, s25, s23
	s_mul_hi_u32 s42, s25, s24
	s_mul_i32 s41, s39, s24
	s_add_i32 s40, s42, s40
	s_mul_i32 s43, s25, s24
	s_add_i32 s40, s40, s41
	s_mul_hi_u32 s42, s24, s43
	s_mul_hi_u32 s44, s23, s43
	s_mul_i32 s41, s23, s43
	s_mul_hi_u32 s43, s24, s40
	s_mul_i32 s24, s24, s40
	s_mul_hi_u32 s45, s23, s40
	s_add_u32 s24, s42, s24
	s_addc_u32 s42, 0, s43
	s_add_u32 s24, s24, s41
	s_mul_i32 s40, s23, s40
	s_addc_u32 s24, s42, s44
	s_addc_u32 s41, s45, 0
	s_add_u32 s24, s24, s40
	s_addc_u32 s40, 0, s41
	v_add_co_u32 v11, s24, v11, s24
	s_delay_alu instid0(VALU_DEP_1) | instskip(SKIP_1) | instid1(VALU_DEP_1)
	s_cmp_lg_u32 s24, 0
	s_addc_u32 s23, s23, s40
	v_readfirstlane_b32 s24, v11
	s_mul_i32 s40, s25, s23
	s_delay_alu instid0(VALU_DEP_1)
	s_mul_hi_u32 s41, s25, s24
	s_mul_i32 s39, s39, s24
	s_add_i32 s40, s41, s40
	s_mul_i32 s25, s25, s24
	s_add_i32 s40, s40, s39
	s_mul_hi_u32 s41, s23, s25
	s_mul_i32 s42, s23, s25
	s_mul_hi_u32 s25, s24, s25
	s_mul_hi_u32 s43, s24, s40
	s_mul_i32 s24, s24, s40
	s_mul_hi_u32 s39, s23, s40
	s_add_u32 s24, s25, s24
	s_addc_u32 s25, 0, s43
	s_add_u32 s24, s24, s42
	s_mul_i32 s40, s23, s40
	s_addc_u32 s24, s25, s41
	s_addc_u32 s25, s39, 0
	s_add_u32 s24, s24, s40
	s_addc_u32 s25, 0, s25
	v_add_co_u32 v11, s24, v11, s24
	s_delay_alu instid0(VALU_DEP_1) | instskip(SKIP_2) | instid1(VALU_DEP_1)
	s_cmp_lg_u32 s24, 0
	s_addc_u32 s23, s23, s25
	s_ashr_i32 s24, s17, 31
	v_readfirstlane_b32 s39, v11
	s_add_u32 s40, s16, s24
	s_mov_b32 s25, s24
	s_addc_u32 s41, s17, s24
	s_delay_alu instid0(SALU_CYCLE_1) | instskip(NEXT) | instid1(SALU_CYCLE_1)
	s_xor_b64 s[40:41], s[40:41], s[24:25]
	s_mul_i32 s43, s40, s23
	s_mul_hi_u32 s44, s40, s39
	s_mul_hi_u32 s42, s40, s23
	;; [unrolled: 1-line block ×3, first 2 shown]
	s_mul_i32 s39, s41, s39
	s_add_u32 s43, s44, s43
	s_addc_u32 s42, 0, s42
	s_mul_hi_u32 s45, s41, s23
	s_add_u32 s39, s43, s39
	s_mul_i32 s23, s41, s23
	s_addc_u32 s39, s42, s46
	s_addc_u32 s42, s45, 0
	s_add_u32 s23, s39, s23
	s_addc_u32 s39, 0, s42
	s_mul_i32 s45, s0, s23
	s_mul_hi_u32 s42, s0, s23
	s_mul_i32 s44, s0, s39
	v_sub_co_u32 v11, s40, s40, s45
	s_mul_i32 s43, s1, s23
	s_add_i32 s42, s42, s44
	s_delay_alu instid0(SALU_CYCLE_1) | instskip(NEXT) | instid1(VALU_DEP_1)
	s_add_i32 s42, s42, s43
	v_sub_co_u32 v12, s44, v11, s0
	s_sub_i32 s43, s41, s42
	s_cmp_lg_u32 s40, 0
	s_subb_u32 s43, s43, s1
	s_cmp_lg_u32 s44, 0
	v_readfirstlane_b32 s44, v12
	s_subb_u32 s43, s43, 0
	s_delay_alu instid0(SALU_CYCLE_1) | instskip(SKIP_1) | instid1(VALU_DEP_1)
	s_cmp_ge_u32 s43, s1
	s_cselect_b32 s45, -1, 0
	s_cmp_ge_u32 s44, s0
	s_cselect_b32 s44, -1, 0
	s_cmp_eq_u32 s43, s1
	s_cselect_b32 s43, s44, s45
	s_add_u32 s44, s23, 1
	s_addc_u32 s45, s39, 0
	s_add_u32 s46, s23, 2
	s_addc_u32 s47, s39, 0
	s_cmp_lg_u32 s43, 0
	s_cselect_b32 s43, s46, s44
	s_cselect_b32 s44, s47, s45
	s_cmp_lg_u32 s40, 0
	v_readfirstlane_b32 s40, v11
	s_subb_u32 s41, s41, s42
	s_delay_alu instid0(SALU_CYCLE_1) | instskip(SKIP_1) | instid1(VALU_DEP_1)
	s_cmp_ge_u32 s41, s1
	s_cselect_b32 s42, -1, 0
	s_cmp_ge_u32 s40, s0
	s_cselect_b32 s0, -1, 0
	s_cmp_eq_u32 s41, s1
	s_cselect_b32 s0, s0, s42
	s_delay_alu instid0(SALU_CYCLE_1) | instskip(SKIP_3) | instid1(SALU_CYCLE_1)
	s_cmp_lg_u32 s0, 0
	s_cselect_b32 s1, s44, s39
	s_cselect_b32 s0, s43, s23
	s_xor_b64 s[24:25], s[24:25], s[2:3]
	s_xor_b64 s[40:41], s[0:1], s[24:25]
	s_delay_alu instid0(SALU_CYCLE_1)
	s_sub_u32 s24, s40, s24
	s_subb_u32 s25, s41, s25
	s_cbranch_execnz .LBB1_17
.LBB1_16:                               ;   in Loop: Header=BB1_14 Depth=2
	v_readfirstlane_b32 s0, v14
	s_sub_i32 s1, 0, s8
	s_mov_b32 s25, s22
	s_delay_alu instid0(VALU_DEP_1) | instskip(NEXT) | instid1(SALU_CYCLE_1)
	s_mul_i32 s1, s1, s0
	s_mul_hi_u32 s1, s0, s1
	s_delay_alu instid0(SALU_CYCLE_1) | instskip(NEXT) | instid1(SALU_CYCLE_1)
	s_add_i32 s0, s0, s1
	s_mul_hi_u32 s0, s16, s0
	s_delay_alu instid0(SALU_CYCLE_1) | instskip(SKIP_2) | instid1(SALU_CYCLE_1)
	s_mul_i32 s1, s0, s8
	s_add_i32 s3, s0, 1
	s_sub_i32 s1, s16, s1
	s_sub_i32 s23, s1, s8
	s_cmp_ge_u32 s1, s8
	s_cselect_b32 s0, s3, s0
	s_cselect_b32 s1, s23, s1
	s_add_i32 s3, s0, 1
	s_cmp_ge_u32 s1, s8
	s_cselect_b32 s24, s3, s0
.LBB1_17:                               ;   in Loop: Header=BB1_14 Depth=2
	s_mul_i32 s0, s36, s25
	s_mul_hi_u32 s1, s36, s24
	s_mul_i32 s3, s36, s24
	s_add_i32 s0, s1, s0
	s_mul_i32 s1, s37, s24
	v_mov_b32_e32 v15, 0
	s_add_i32 s0, s0, s1
	s_add_u32 s1, s16, s3
	s_addc_u32 s0, s17, s0
	v_mad_u64_u32 v[11:12], null, s1, s34, v[5:6]
	s_mul_i32 s1, s1, s33
	s_mul_i32 s0, s0, s34
	s_delay_alu instid0(VALU_DEP_1) | instid1(SALU_CYCLE_1)
	v_add3_u32 v12, s1, s0, v12
	s_delay_alu instid0(VALU_DEP_1) | instskip(SKIP_1) | instid1(VALU_DEP_1)
	v_cmp_lt_i64_e32 vcc_lo, -1, v[11:12]
	v_cmp_gt_i64_e64 s0, s[6:7], v[11:12]
	s_and_b32 s0, vcc_lo, s0
	s_delay_alu instid0(SALU_CYCLE_1) | instskip(NEXT) | instid1(SALU_CYCLE_1)
	s_and_b32 s1, s0, s38
	s_and_saveexec_b32 s0, s1
	s_cbranch_execz .LBB1_13
; %bb.18:                               ;   in Loop: Header=BB1_14 Depth=2
	v_mul_lo_u32 v12, v12, s4
	v_mul_lo_u32 v17, v11, s5
	v_mad_u64_u32 v[15:16], null, v11, s4, 0
	s_mul_i32 s1, s24, s19
	s_mul_hi_u32 s3, s24, s18
	s_mul_i32 s23, s25, s18
	s_add_i32 s1, s3, s1
	s_mul_i32 s24, s24, s18
	s_add_i32 s25, s1, s23
	s_delay_alu instid0(VALU_DEP_1) | instskip(SKIP_1) | instid1(VALU_DEP_1)
	v_add3_u32 v16, v16, v17, v12
	s_lshl_b64 s[24:25], s[24:25], 2
	v_lshlrev_b64 v[11:12], 2, v[15:16]
	v_add_co_u32 v15, vcc_lo, v2, s24
	v_add_co_ci_u32_e32 v16, vcc_lo, s25, v13, vcc_lo
	s_delay_alu instid0(VALU_DEP_2) | instskip(NEXT) | instid1(VALU_DEP_2)
	v_add_co_u32 v11, vcc_lo, v15, v11
	v_add_co_ci_u32_e32 v12, vcc_lo, v16, v12, vcc_lo
	s_delay_alu instid0(VALU_DEP_2) | instskip(NEXT) | instid1(VALU_DEP_2)
	v_add_co_u32 v11, vcc_lo, v11, v7
	v_add_co_ci_u32_e32 v12, vcc_lo, v12, v8, vcc_lo
	global_load_b32 v15, v[11:12], off
	s_branch .LBB1_13
.LBB1_19:                               ;   in Loop: Header=BB1_14 Depth=2
                                        ; implicit-def: $sgpr24_sgpr25
	s_branch .LBB1_16
.LBB1_20:
	s_nop 0
	s_sendmsg sendmsg(MSG_DEALLOC_VGPRS)
	s_endpgm
.LBB1_21:
                                        ; implicit-def: $vgpr5_vgpr6
	s_branch .LBB1_4
	.section	.rodata,"a",@progbits
	.p2align	6, 0x0
	.amdhsa_kernel _ZL13im2col_kernelIfEvPKfPT_lllllllllllliiiiii
		.amdhsa_group_segment_fixed_size 0
		.amdhsa_private_segment_fixed_size 0
		.amdhsa_kernarg_size 392
		.amdhsa_user_sgpr_count 13
		.amdhsa_user_sgpr_dispatch_ptr 0
		.amdhsa_user_sgpr_queue_ptr 0
		.amdhsa_user_sgpr_kernarg_segment_ptr 1
		.amdhsa_user_sgpr_dispatch_id 0
		.amdhsa_user_sgpr_private_segment_size 0
		.amdhsa_wavefront_size32 1
		.amdhsa_uses_dynamic_stack 0
		.amdhsa_enable_private_segment 0
		.amdhsa_system_sgpr_workgroup_id_x 1
		.amdhsa_system_sgpr_workgroup_id_y 1
		.amdhsa_system_sgpr_workgroup_id_z 1
		.amdhsa_system_sgpr_workgroup_info 0
		.amdhsa_system_vgpr_workitem_id 0
		.amdhsa_next_free_vgpr 18
		.amdhsa_next_free_sgpr 48
		.amdhsa_reserve_vcc 1
		.amdhsa_float_round_mode_32 0
		.amdhsa_float_round_mode_16_64 0
		.amdhsa_float_denorm_mode_32 3
		.amdhsa_float_denorm_mode_16_64 3
		.amdhsa_dx10_clamp 1
		.amdhsa_ieee_mode 1
		.amdhsa_fp16_overflow 0
		.amdhsa_workgroup_processor_mode 1
		.amdhsa_memory_ordered 1
		.amdhsa_forward_progress 0
		.amdhsa_shared_vgpr_count 0
		.amdhsa_exception_fp_ieee_invalid_op 0
		.amdhsa_exception_fp_denorm_src 0
		.amdhsa_exception_fp_ieee_div_zero 0
		.amdhsa_exception_fp_ieee_overflow 0
		.amdhsa_exception_fp_ieee_underflow 0
		.amdhsa_exception_fp_ieee_inexact 0
		.amdhsa_exception_int_div_zero 0
	.end_amdhsa_kernel
	.section	.text._ZL13im2col_kernelIfEvPKfPT_lllllllllllliiiiii,"axG",@progbits,_ZL13im2col_kernelIfEvPKfPT_lllllllllllliiiiii,comdat
.Lfunc_end1:
	.size	_ZL13im2col_kernelIfEvPKfPT_lllllllllllliiiiii, .Lfunc_end1-_ZL13im2col_kernelIfEvPKfPT_lllllllllllliiiiii
                                        ; -- End function
	.section	.AMDGPU.csdata,"",@progbits
; Kernel info:
; codeLenInByte = 3732
; NumSgprs: 50
; NumVgprs: 18
; ScratchSize: 0
; MemoryBound: 0
; FloatMode: 240
; IeeeMode: 1
; LDSByteSize: 0 bytes/workgroup (compile time only)
; SGPRBlocks: 6
; VGPRBlocks: 2
; NumSGPRsForWavesPerEU: 50
; NumVGPRsForWavesPerEU: 18
; Occupancy: 16
; WaveLimiterHint : 1
; COMPUTE_PGM_RSRC2:SCRATCH_EN: 0
; COMPUTE_PGM_RSRC2:USER_SGPR: 13
; COMPUTE_PGM_RSRC2:TRAP_HANDLER: 0
; COMPUTE_PGM_RSRC2:TGID_X_EN: 1
; COMPUTE_PGM_RSRC2:TGID_Y_EN: 1
; COMPUTE_PGM_RSRC2:TGID_Z_EN: 1
; COMPUTE_PGM_RSRC2:TIDIG_COMP_CNT: 0
	.section	.text._ZL16im2col_3d_kernelI6__halfEvPKfPT_llllllllllllllllllllllllllllliiiiiiiii,"axG",@progbits,_ZL16im2col_3d_kernelI6__halfEvPKfPT_llllllllllllllllllllllllllllliiiiiiiii,comdat
	.globl	_ZL16im2col_3d_kernelI6__halfEvPKfPT_llllllllllllllllllllllllllllliiiiiiiii ; -- Begin function _ZL16im2col_3d_kernelI6__halfEvPKfPT_llllllllllllllllllllllllllllliiiiiiiii
	.p2align	8
	.type	_ZL16im2col_3d_kernelI6__halfEvPKfPT_llllllllllllllllllllllllllllliiiiiiiii,@function
_ZL16im2col_3d_kernelI6__halfEvPKfPT_llllllllllllllllllllllllllllliiiiiiiii: ; @_ZL16im2col_3d_kernelI6__halfEvPKfPT_llllllllllllllllllllllllllllliiiiiiiii
; %bb.0:
	s_clause 0x1
	s_load_b32 s2, s[0:1], 0x12c
	s_load_b64 s[34:35], s[0:1], 0xa0
	s_waitcnt lgkmcnt(0)
	s_and_b32 s2, s2, 0xffff
	s_delay_alu instid0(SALU_CYCLE_1) | instskip(SKIP_2) | instid1(VALU_DEP_1)
	v_mad_u64_u32 v[2:3], null, s13, s2, v[0:1]
	v_mov_b32_e32 v3, 0
	s_mov_b32 s2, exec_lo
	v_cmpx_gt_i64_e64 s[34:35], v[2:3]
	s_cbranch_execz .LBB2_39
; %bb.1:
	s_load_b64 s[4:5], s[0:1], 0x78
	s_mov_b32 s6, 0
	s_mov_b32 s12, s15
	s_waitcnt lgkmcnt(0)
	s_mov_b32 s7, s5
	s_delay_alu instid0(SALU_CYCLE_1)
	s_cmp_lg_u64 s[6:7], 0
	s_cbranch_scc0 .LBB2_40
; %bb.2:
	s_ashr_i32 s8, s5, 31
	s_delay_alu instid0(SALU_CYCLE_1) | instskip(SKIP_2) | instid1(SALU_CYCLE_1)
	s_add_u32 s2, s4, s8
	s_mov_b32 s9, s8
	s_addc_u32 s3, s5, s8
	s_xor_b64 s[10:11], s[2:3], s[8:9]
	s_delay_alu instid0(SALU_CYCLE_1) | instskip(SKIP_3) | instid1(VALU_DEP_1)
	v_cvt_f32_u32_e32 v0, s10
	v_cvt_f32_u32_e32 v1, s11
	s_sub_u32 s2, 0, s10
	s_subb_u32 s3, 0, s11
	v_fmamk_f32 v0, v1, 0x4f800000, v0
	s_delay_alu instid0(VALU_DEP_1) | instskip(SKIP_2) | instid1(VALU_DEP_1)
	v_rcp_f32_e32 v0, v0
	s_waitcnt_depctr 0xfff
	v_mul_f32_e32 v0, 0x5f7ffffc, v0
	v_mul_f32_e32 v1, 0x2f800000, v0
	s_delay_alu instid0(VALU_DEP_1) | instskip(NEXT) | instid1(VALU_DEP_1)
	v_trunc_f32_e32 v1, v1
	v_fmamk_f32 v0, v1, 0xcf800000, v0
	v_cvt_u32_f32_e32 v1, v1
	s_delay_alu instid0(VALU_DEP_2) | instskip(NEXT) | instid1(VALU_DEP_2)
	v_cvt_u32_f32_e32 v0, v0
	v_mul_lo_u32 v3, s2, v1
	s_delay_alu instid0(VALU_DEP_2) | instskip(SKIP_1) | instid1(VALU_DEP_2)
	v_mul_hi_u32 v4, s2, v0
	v_mul_lo_u32 v5, s3, v0
	v_add_nc_u32_e32 v3, v4, v3
	v_mul_lo_u32 v4, s2, v0
	s_delay_alu instid0(VALU_DEP_2) | instskip(NEXT) | instid1(VALU_DEP_2)
	v_add_nc_u32_e32 v3, v3, v5
	v_mul_hi_u32 v5, v0, v4
	s_delay_alu instid0(VALU_DEP_2)
	v_mul_lo_u32 v6, v0, v3
	v_mul_hi_u32 v7, v0, v3
	v_mul_hi_u32 v8, v1, v4
	v_mul_lo_u32 v4, v1, v4
	v_mul_hi_u32 v9, v1, v3
	v_mul_lo_u32 v3, v1, v3
	v_add_co_u32 v5, vcc_lo, v5, v6
	v_add_co_ci_u32_e32 v6, vcc_lo, 0, v7, vcc_lo
	s_delay_alu instid0(VALU_DEP_2) | instskip(NEXT) | instid1(VALU_DEP_2)
	v_add_co_u32 v4, vcc_lo, v5, v4
	v_add_co_ci_u32_e32 v4, vcc_lo, v6, v8, vcc_lo
	v_add_co_ci_u32_e32 v5, vcc_lo, 0, v9, vcc_lo
	s_delay_alu instid0(VALU_DEP_2) | instskip(NEXT) | instid1(VALU_DEP_2)
	v_add_co_u32 v3, vcc_lo, v4, v3
	v_add_co_ci_u32_e32 v4, vcc_lo, 0, v5, vcc_lo
	s_delay_alu instid0(VALU_DEP_2) | instskip(NEXT) | instid1(VALU_DEP_2)
	v_add_co_u32 v0, vcc_lo, v0, v3
	v_add_co_ci_u32_e32 v1, vcc_lo, v1, v4, vcc_lo
	s_delay_alu instid0(VALU_DEP_2) | instskip(SKIP_1) | instid1(VALU_DEP_3)
	v_mul_hi_u32 v3, s2, v0
	v_mul_lo_u32 v5, s3, v0
	v_mul_lo_u32 v4, s2, v1
	s_delay_alu instid0(VALU_DEP_1) | instskip(SKIP_1) | instid1(VALU_DEP_2)
	v_add_nc_u32_e32 v3, v3, v4
	v_mul_lo_u32 v4, s2, v0
	v_add_nc_u32_e32 v3, v3, v5
	s_delay_alu instid0(VALU_DEP_2) | instskip(NEXT) | instid1(VALU_DEP_2)
	v_mul_hi_u32 v5, v0, v4
	v_mul_lo_u32 v6, v0, v3
	v_mul_hi_u32 v7, v0, v3
	v_mul_hi_u32 v8, v1, v4
	v_mul_lo_u32 v4, v1, v4
	v_mul_hi_u32 v9, v1, v3
	v_mul_lo_u32 v3, v1, v3
	v_add_co_u32 v5, vcc_lo, v5, v6
	v_add_co_ci_u32_e32 v6, vcc_lo, 0, v7, vcc_lo
	s_delay_alu instid0(VALU_DEP_2) | instskip(NEXT) | instid1(VALU_DEP_2)
	v_add_co_u32 v4, vcc_lo, v5, v4
	v_add_co_ci_u32_e32 v4, vcc_lo, v6, v8, vcc_lo
	v_add_co_ci_u32_e32 v5, vcc_lo, 0, v9, vcc_lo
	s_delay_alu instid0(VALU_DEP_2) | instskip(NEXT) | instid1(VALU_DEP_2)
	v_add_co_u32 v3, vcc_lo, v4, v3
	v_add_co_ci_u32_e32 v4, vcc_lo, 0, v5, vcc_lo
	s_delay_alu instid0(VALU_DEP_2) | instskip(NEXT) | instid1(VALU_DEP_2)
	v_add_co_u32 v5, vcc_lo, v0, v3
	v_add_co_ci_u32_e32 v7, vcc_lo, v1, v4, vcc_lo
	s_delay_alu instid0(VALU_DEP_2) | instskip(SKIP_1) | instid1(VALU_DEP_3)
	v_mul_hi_u32 v8, v2, v5
	v_mad_u64_u32 v[3:4], null, 0, v5, 0
	v_mad_u64_u32 v[0:1], null, v2, v7, 0
	v_mad_u64_u32 v[5:6], null, 0, v7, 0
	s_delay_alu instid0(VALU_DEP_2) | instskip(NEXT) | instid1(VALU_DEP_3)
	v_add_co_u32 v0, vcc_lo, v8, v0
	v_add_co_ci_u32_e32 v1, vcc_lo, 0, v1, vcc_lo
	s_delay_alu instid0(VALU_DEP_2) | instskip(NEXT) | instid1(VALU_DEP_2)
	v_add_co_u32 v0, vcc_lo, v0, v3
	v_add_co_ci_u32_e32 v0, vcc_lo, v1, v4, vcc_lo
	v_add_co_ci_u32_e32 v1, vcc_lo, 0, v6, vcc_lo
	s_delay_alu instid0(VALU_DEP_2) | instskip(NEXT) | instid1(VALU_DEP_2)
	v_add_co_u32 v3, vcc_lo, v0, v5
	v_add_co_ci_u32_e32 v4, vcc_lo, 0, v1, vcc_lo
	s_delay_alu instid0(VALU_DEP_2) | instskip(SKIP_1) | instid1(VALU_DEP_3)
	v_mul_lo_u32 v5, s11, v3
	v_mad_u64_u32 v[0:1], null, s10, v3, 0
	v_mul_lo_u32 v6, s10, v4
	s_delay_alu instid0(VALU_DEP_2) | instskip(NEXT) | instid1(VALU_DEP_2)
	v_sub_co_u32 v0, vcc_lo, v2, v0
	v_add3_u32 v1, v1, v6, v5
	s_delay_alu instid0(VALU_DEP_1) | instskip(NEXT) | instid1(VALU_DEP_1)
	v_sub_nc_u32_e32 v5, 0, v1
	v_subrev_co_ci_u32_e64 v5, s2, s11, v5, vcc_lo
	v_add_co_u32 v6, s2, v3, 2
	s_delay_alu instid0(VALU_DEP_1) | instskip(SKIP_3) | instid1(VALU_DEP_3)
	v_add_co_ci_u32_e64 v7, s2, 0, v4, s2
	v_sub_co_u32 v8, s2, v0, s10
	v_sub_co_ci_u32_e32 v1, vcc_lo, 0, v1, vcc_lo
	v_subrev_co_ci_u32_e64 v5, s2, 0, v5, s2
	v_cmp_le_u32_e32 vcc_lo, s10, v8
	s_delay_alu instid0(VALU_DEP_3) | instskip(SKIP_1) | instid1(VALU_DEP_4)
	v_cmp_eq_u32_e64 s2, s11, v1
	v_cndmask_b32_e64 v8, 0, -1, vcc_lo
	v_cmp_le_u32_e32 vcc_lo, s11, v5
	v_cndmask_b32_e64 v9, 0, -1, vcc_lo
	v_cmp_le_u32_e32 vcc_lo, s10, v0
	;; [unrolled: 2-line block ×3, first 2 shown]
	v_cndmask_b32_e64 v10, 0, -1, vcc_lo
	v_cmp_eq_u32_e32 vcc_lo, s11, v5
	s_delay_alu instid0(VALU_DEP_2) | instskip(SKIP_3) | instid1(VALU_DEP_3)
	v_cndmask_b32_e64 v0, v10, v0, s2
	v_cndmask_b32_e32 v5, v9, v8, vcc_lo
	v_add_co_u32 v8, vcc_lo, v3, 1
	v_add_co_ci_u32_e32 v9, vcc_lo, 0, v4, vcc_lo
	v_cmp_ne_u32_e32 vcc_lo, 0, v5
	s_delay_alu instid0(VALU_DEP_2) | instskip(NEXT) | instid1(VALU_DEP_4)
	v_cndmask_b32_e32 v1, v9, v7, vcc_lo
	v_cndmask_b32_e32 v5, v8, v6, vcc_lo
	v_cmp_ne_u32_e32 vcc_lo, 0, v0
	s_delay_alu instid0(VALU_DEP_3) | instskip(NEXT) | instid1(VALU_DEP_3)
	v_cndmask_b32_e32 v0, v4, v1, vcc_lo
	v_cndmask_b32_e32 v1, v3, v5, vcc_lo
	s_delay_alu instid0(VALU_DEP_2) | instskip(NEXT) | instid1(VALU_DEP_2)
	v_xor_b32_e32 v3, s8, v0
	v_xor_b32_e32 v1, s8, v1
	s_delay_alu instid0(VALU_DEP_1) | instskip(NEXT) | instid1(VALU_DEP_3)
	v_sub_co_u32 v0, vcc_lo, v1, s8
	v_subrev_co_ci_u32_e32 v1, vcc_lo, s8, v3, vcc_lo
	s_and_not1_b32 vcc_lo, exec_lo, s6
	s_cbranch_vccnz .LBB2_4
.LBB2_3:
	v_cvt_f32_u32_e32 v0, s4
	s_sub_i32 s2, 0, s4
	s_delay_alu instid0(VALU_DEP_1) | instskip(SKIP_2) | instid1(VALU_DEP_1)
	v_rcp_iflag_f32_e32 v0, v0
	s_waitcnt_depctr 0xfff
	v_mul_f32_e32 v0, 0x4f7ffffe, v0
	v_cvt_u32_f32_e32 v0, v0
	s_delay_alu instid0(VALU_DEP_1) | instskip(NEXT) | instid1(VALU_DEP_1)
	v_mul_lo_u32 v1, s2, v0
	v_mul_hi_u32 v1, v0, v1
	s_delay_alu instid0(VALU_DEP_1) | instskip(NEXT) | instid1(VALU_DEP_1)
	v_add_nc_u32_e32 v0, v0, v1
	v_mul_hi_u32 v0, v2, v0
	s_delay_alu instid0(VALU_DEP_1) | instskip(SKIP_1) | instid1(VALU_DEP_2)
	v_mul_lo_u32 v1, v0, s4
	v_add_nc_u32_e32 v3, 1, v0
	v_sub_nc_u32_e32 v1, v2, v1
	s_delay_alu instid0(VALU_DEP_1) | instskip(SKIP_1) | instid1(VALU_DEP_2)
	v_subrev_nc_u32_e32 v4, s4, v1
	v_cmp_le_u32_e32 vcc_lo, s4, v1
	v_dual_cndmask_b32 v1, v1, v4 :: v_dual_cndmask_b32 v0, v0, v3
	s_delay_alu instid0(VALU_DEP_1) | instskip(NEXT) | instid1(VALU_DEP_2)
	v_cmp_le_u32_e32 vcc_lo, s4, v1
	v_add_nc_u32_e32 v3, 1, v0
	s_delay_alu instid0(VALU_DEP_1)
	v_dual_mov_b32 v1, 0 :: v_dual_cndmask_b32 v0, v0, v3
.LBB2_4:
	s_load_b128 s[44:47], s[0:1], 0x60
	s_mov_b32 s15, 0
	s_waitcnt lgkmcnt(0)
	v_cmp_ge_i64_e64 s2, s[14:15], s[46:47]
	s_delay_alu instid0(VALU_DEP_1)
	s_and_b32 vcc_lo, exec_lo, s2
	s_cbranch_vccnz .LBB2_39
; %bb.5:
	s_load_b64 s[56:57], s[0:1], 0x50
	s_mov_b32 s2, s15
	s_waitcnt lgkmcnt(0)
	s_mov_b32 s3, s57
	s_delay_alu instid0(SALU_CYCLE_1)
	s_cmp_lg_u64 s[2:3], 0
	s_cbranch_scc0 .LBB2_41
; %bb.6:
	s_ashr_i32 s2, s57, 31
	s_delay_alu instid0(SALU_CYCLE_1) | instskip(SKIP_2) | instid1(SALU_CYCLE_1)
	s_add_u32 s6, s56, s2
	s_mov_b32 s3, s2
	s_addc_u32 s7, s57, s2
	s_xor_b64 s[6:7], s[6:7], s[2:3]
	s_delay_alu instid0(SALU_CYCLE_1) | instskip(SKIP_3) | instid1(VALU_DEP_1)
	v_cvt_f32_u32_e32 v3, s6
	v_cvt_f32_u32_e32 v4, s7
	s_sub_u32 s2, 0, s6
	s_subb_u32 s3, 0, s7
	v_fmamk_f32 v3, v4, 0x4f800000, v3
	s_delay_alu instid0(VALU_DEP_1) | instskip(SKIP_2) | instid1(VALU_DEP_1)
	v_rcp_f32_e32 v3, v3
	s_waitcnt_depctr 0xfff
	v_mul_f32_e32 v3, 0x5f7ffffc, v3
	v_mul_f32_e32 v4, 0x2f800000, v3
	s_delay_alu instid0(VALU_DEP_1) | instskip(NEXT) | instid1(VALU_DEP_1)
	v_trunc_f32_e32 v4, v4
	v_fmamk_f32 v3, v4, 0xcf800000, v3
	v_cvt_u32_f32_e32 v4, v4
	s_delay_alu instid0(VALU_DEP_2) | instskip(NEXT) | instid1(VALU_DEP_2)
	v_cvt_u32_f32_e32 v3, v3
	v_mul_lo_u32 v5, s2, v4
	s_delay_alu instid0(VALU_DEP_2) | instskip(SKIP_1) | instid1(VALU_DEP_2)
	v_mul_hi_u32 v6, s2, v3
	v_mul_lo_u32 v7, s3, v3
	v_add_nc_u32_e32 v5, v6, v5
	v_mul_lo_u32 v6, s2, v3
	s_delay_alu instid0(VALU_DEP_2) | instskip(NEXT) | instid1(VALU_DEP_2)
	v_add_nc_u32_e32 v5, v5, v7
	v_mul_hi_u32 v7, v3, v6
	s_delay_alu instid0(VALU_DEP_2)
	v_mul_lo_u32 v8, v3, v5
	v_mul_hi_u32 v9, v3, v5
	v_mul_hi_u32 v10, v4, v6
	v_mul_lo_u32 v6, v4, v6
	v_mul_hi_u32 v11, v4, v5
	v_mul_lo_u32 v5, v4, v5
	v_add_co_u32 v7, vcc_lo, v7, v8
	v_add_co_ci_u32_e32 v8, vcc_lo, 0, v9, vcc_lo
	s_delay_alu instid0(VALU_DEP_2) | instskip(NEXT) | instid1(VALU_DEP_2)
	v_add_co_u32 v6, vcc_lo, v7, v6
	v_add_co_ci_u32_e32 v6, vcc_lo, v8, v10, vcc_lo
	v_add_co_ci_u32_e32 v7, vcc_lo, 0, v11, vcc_lo
	s_delay_alu instid0(VALU_DEP_2) | instskip(NEXT) | instid1(VALU_DEP_2)
	v_add_co_u32 v5, vcc_lo, v6, v5
	v_add_co_ci_u32_e32 v6, vcc_lo, 0, v7, vcc_lo
	s_delay_alu instid0(VALU_DEP_2) | instskip(NEXT) | instid1(VALU_DEP_2)
	v_add_co_u32 v3, vcc_lo, v3, v5
	v_add_co_ci_u32_e32 v4, vcc_lo, v4, v6, vcc_lo
	s_delay_alu instid0(VALU_DEP_2) | instskip(SKIP_1) | instid1(VALU_DEP_3)
	v_mul_hi_u32 v5, s2, v3
	v_mul_lo_u32 v7, s3, v3
	v_mul_lo_u32 v6, s2, v4
	s_delay_alu instid0(VALU_DEP_1) | instskip(SKIP_1) | instid1(VALU_DEP_2)
	v_add_nc_u32_e32 v5, v5, v6
	v_mul_lo_u32 v6, s2, v3
	v_add_nc_u32_e32 v5, v5, v7
	s_delay_alu instid0(VALU_DEP_2) | instskip(NEXT) | instid1(VALU_DEP_2)
	v_mul_hi_u32 v7, v3, v6
	v_mul_lo_u32 v8, v3, v5
	v_mul_hi_u32 v9, v3, v5
	v_mul_hi_u32 v10, v4, v6
	v_mul_lo_u32 v6, v4, v6
	v_mul_hi_u32 v11, v4, v5
	v_mul_lo_u32 v5, v4, v5
	v_add_co_u32 v7, vcc_lo, v7, v8
	v_add_co_ci_u32_e32 v8, vcc_lo, 0, v9, vcc_lo
	s_delay_alu instid0(VALU_DEP_2) | instskip(NEXT) | instid1(VALU_DEP_2)
	v_add_co_u32 v6, vcc_lo, v7, v6
	v_add_co_ci_u32_e32 v6, vcc_lo, v8, v10, vcc_lo
	v_add_co_ci_u32_e32 v7, vcc_lo, 0, v11, vcc_lo
	s_delay_alu instid0(VALU_DEP_2) | instskip(NEXT) | instid1(VALU_DEP_2)
	v_add_co_u32 v5, vcc_lo, v6, v5
	v_add_co_ci_u32_e32 v6, vcc_lo, 0, v7, vcc_lo
	s_delay_alu instid0(VALU_DEP_2) | instskip(NEXT) | instid1(VALU_DEP_2)
	v_add_co_u32 v7, vcc_lo, v3, v5
	v_add_co_ci_u32_e32 v9, vcc_lo, v4, v6, vcc_lo
	s_delay_alu instid0(VALU_DEP_2) | instskip(SKIP_1) | instid1(VALU_DEP_3)
	v_mul_hi_u32 v10, v2, v7
	v_mad_u64_u32 v[5:6], null, 0, v7, 0
	v_mad_u64_u32 v[3:4], null, v2, v9, 0
	;; [unrolled: 1-line block ×3, first 2 shown]
	s_delay_alu instid0(VALU_DEP_2) | instskip(NEXT) | instid1(VALU_DEP_3)
	v_add_co_u32 v3, vcc_lo, v10, v3
	v_add_co_ci_u32_e32 v4, vcc_lo, 0, v4, vcc_lo
	s_delay_alu instid0(VALU_DEP_2) | instskip(NEXT) | instid1(VALU_DEP_2)
	v_add_co_u32 v3, vcc_lo, v3, v5
	v_add_co_ci_u32_e32 v3, vcc_lo, v4, v6, vcc_lo
	v_add_co_ci_u32_e32 v4, vcc_lo, 0, v8, vcc_lo
	s_delay_alu instid0(VALU_DEP_2) | instskip(NEXT) | instid1(VALU_DEP_2)
	v_add_co_u32 v5, vcc_lo, v3, v7
	v_add_co_ci_u32_e32 v6, vcc_lo, 0, v4, vcc_lo
	s_delay_alu instid0(VALU_DEP_2) | instskip(SKIP_1) | instid1(VALU_DEP_3)
	v_mul_lo_u32 v7, s7, v5
	v_mad_u64_u32 v[3:4], null, s6, v5, 0
	v_mul_lo_u32 v5, s6, v6
	s_delay_alu instid0(VALU_DEP_2) | instskip(NEXT) | instid1(VALU_DEP_2)
	v_sub_co_u32 v3, vcc_lo, v2, v3
	v_add3_u32 v4, v4, v5, v7
	s_delay_alu instid0(VALU_DEP_1) | instskip(NEXT) | instid1(VALU_DEP_1)
	v_sub_nc_u32_e32 v5, 0, v4
	v_subrev_co_ci_u32_e64 v5, s2, s7, v5, vcc_lo
	v_sub_co_ci_u32_e32 v4, vcc_lo, 0, v4, vcc_lo
	v_sub_co_u32 v6, vcc_lo, v3, s6
	s_delay_alu instid0(VALU_DEP_1) | instskip(SKIP_3) | instid1(VALU_DEP_3)
	v_subrev_co_ci_u32_e64 v7, s2, 0, v5, vcc_lo
	v_cmp_le_u32_e64 s2, s6, v3
	v_subrev_co_ci_u32_e32 v5, vcc_lo, s7, v5, vcc_lo
	v_cmp_le_u32_e32 vcc_lo, s7, v4
	v_cndmask_b32_e64 v8, 0, -1, s2
	v_cmp_le_u32_e64 s2, s6, v6
	v_cndmask_b32_e64 v11, 0, -1, vcc_lo
	v_cmp_eq_u32_e32 vcc_lo, s7, v7
	s_delay_alu instid0(VALU_DEP_3) | instskip(SKIP_1) | instid1(VALU_DEP_1)
	v_cndmask_b32_e64 v9, 0, -1, s2
	v_cmp_le_u32_e64 s2, s7, v7
	v_cndmask_b32_e64 v10, 0, -1, s2
	v_cmp_eq_u32_e64 s2, s7, v4
	s_delay_alu instid0(VALU_DEP_2) | instskip(SKIP_2) | instid1(VALU_DEP_3)
	v_cndmask_b32_e32 v9, v10, v9, vcc_lo
	v_sub_co_u32 v10, vcc_lo, v6, s6
	v_subrev_co_ci_u32_e32 v5, vcc_lo, 0, v5, vcc_lo
	v_cmp_ne_u32_e32 vcc_lo, 0, v9
	v_cndmask_b32_e64 v8, v11, v8, s2
	s_delay_alu instid0(VALU_DEP_3) | instskip(NEXT) | instid1(VALU_DEP_2)
	v_dual_cndmask_b32 v5, v7, v5 :: v_dual_cndmask_b32 v6, v6, v10
	v_cmp_ne_u32_e32 vcc_lo, 0, v8
	s_delay_alu instid0(VALU_DEP_2) | instskip(NEXT) | instid1(VALU_DEP_1)
	v_dual_cndmask_b32 v3, v3, v6 :: v_dual_cndmask_b32 v4, v4, v5
	v_sub_co_u32 v8, vcc_lo, v3, 0
	s_delay_alu instid0(VALU_DEP_2)
	v_subrev_co_ci_u32_e32 v9, vcc_lo, 0, v4, vcc_lo
	v_cvt_f32_u32_e32 v3, s56
	s_cbranch_execnz .LBB2_8
.LBB2_7:
	s_delay_alu instid0(VALU_DEP_1) | instskip(SKIP_3) | instid1(VALU_DEP_1)
	v_rcp_iflag_f32_e32 v4, v3
	s_sub_i32 s2, 0, s56
	s_waitcnt_depctr 0xfff
	v_dual_mov_b32 v9, 0 :: v_dual_mul_f32 v4, 0x4f7ffffe, v4
	v_cvt_u32_f32_e32 v4, v4
	s_delay_alu instid0(VALU_DEP_1) | instskip(NEXT) | instid1(VALU_DEP_1)
	v_mul_lo_u32 v5, s2, v4
	v_mul_hi_u32 v5, v4, v5
	s_delay_alu instid0(VALU_DEP_1) | instskip(NEXT) | instid1(VALU_DEP_1)
	v_add_nc_u32_e32 v4, v4, v5
	v_mul_hi_u32 v4, v2, v4
	s_delay_alu instid0(VALU_DEP_1) | instskip(NEXT) | instid1(VALU_DEP_1)
	v_mul_lo_u32 v4, v4, s56
	v_sub_nc_u32_e32 v4, v2, v4
	s_delay_alu instid0(VALU_DEP_1) | instskip(SKIP_1) | instid1(VALU_DEP_2)
	v_subrev_nc_u32_e32 v5, s56, v4
	v_cmp_le_u32_e32 vcc_lo, s56, v4
	v_cndmask_b32_e32 v4, v4, v5, vcc_lo
	s_delay_alu instid0(VALU_DEP_1) | instskip(SKIP_1) | instid1(VALU_DEP_2)
	v_subrev_nc_u32_e32 v5, s56, v4
	v_cmp_le_u32_e32 vcc_lo, s56, v4
	v_cndmask_b32_e32 v8, v4, v5, vcc_lo
.LBB2_8:
	s_load_b64 s[6:7], s[0:1], 0x88
	v_mul_lo_u32 v6, v1, s4
	v_mul_lo_u32 v7, v0, s5
	v_mad_u64_u32 v[4:5], null, v0, s4, 0
	s_delay_alu instid0(VALU_DEP_1) | instskip(NEXT) | instid1(VALU_DEP_2)
	v_add3_u32 v5, v5, v7, v6
	v_sub_co_u32 v2, vcc_lo, v2, v4
	v_mov_b32_e32 v6, 0
	s_delay_alu instid0(VALU_DEP_3) | instskip(SKIP_1) | instid1(VALU_DEP_1)
	v_sub_co_ci_u32_e32 v12, vcc_lo, 0, v5, vcc_lo
	s_waitcnt lgkmcnt(0)
	v_or_b32_e32 v7, s7, v12
	s_delay_alu instid0(VALU_DEP_1) | instskip(SKIP_1) | instid1(SALU_CYCLE_1)
	v_cmp_ne_u64_e32 vcc_lo, 0, v[6:7]
                                        ; implicit-def: $vgpr6_vgpr7
	s_and_saveexec_b32 s2, vcc_lo
	s_xor_b32 s3, exec_lo, s2
	s_cbranch_execz .LBB2_10
; %bb.9:
	s_ashr_i32 s4, s7, 31
	s_delay_alu instid0(SALU_CYCLE_1) | instskip(SKIP_2) | instid1(SALU_CYCLE_1)
	s_add_u32 s8, s6, s4
	s_mov_b32 s5, s4
	s_addc_u32 s9, s7, s4
	s_xor_b64 s[8:9], s[8:9], s[4:5]
	s_delay_alu instid0(SALU_CYCLE_1) | instskip(SKIP_3) | instid1(VALU_DEP_1)
	v_cvt_f32_u32_e32 v6, s8
	v_cvt_f32_u32_e32 v7, s9
	s_sub_u32 s2, 0, s8
	s_subb_u32 s5, 0, s9
	v_fmamk_f32 v6, v7, 0x4f800000, v6
	s_delay_alu instid0(VALU_DEP_1) | instskip(SKIP_2) | instid1(VALU_DEP_1)
	v_rcp_f32_e32 v6, v6
	s_waitcnt_depctr 0xfff
	v_mul_f32_e32 v6, 0x5f7ffffc, v6
	v_mul_f32_e32 v7, 0x2f800000, v6
	s_delay_alu instid0(VALU_DEP_1) | instskip(NEXT) | instid1(VALU_DEP_1)
	v_trunc_f32_e32 v7, v7
	v_fmamk_f32 v6, v7, 0xcf800000, v6
	v_cvt_u32_f32_e32 v7, v7
	s_delay_alu instid0(VALU_DEP_2) | instskip(NEXT) | instid1(VALU_DEP_2)
	v_cvt_u32_f32_e32 v6, v6
	v_mul_lo_u32 v10, s2, v7
	s_delay_alu instid0(VALU_DEP_2) | instskip(SKIP_1) | instid1(VALU_DEP_2)
	v_mul_hi_u32 v11, s2, v6
	v_mul_lo_u32 v13, s5, v6
	v_add_nc_u32_e32 v10, v11, v10
	v_mul_lo_u32 v11, s2, v6
	s_delay_alu instid0(VALU_DEP_2) | instskip(NEXT) | instid1(VALU_DEP_2)
	v_add_nc_u32_e32 v10, v10, v13
	v_mul_hi_u32 v13, v6, v11
	s_delay_alu instid0(VALU_DEP_2)
	v_mul_lo_u32 v14, v6, v10
	v_mul_hi_u32 v15, v6, v10
	v_mul_hi_u32 v16, v7, v11
	v_mul_lo_u32 v11, v7, v11
	v_mul_hi_u32 v17, v7, v10
	v_mul_lo_u32 v10, v7, v10
	v_add_co_u32 v13, vcc_lo, v13, v14
	v_add_co_ci_u32_e32 v14, vcc_lo, 0, v15, vcc_lo
	s_delay_alu instid0(VALU_DEP_2) | instskip(NEXT) | instid1(VALU_DEP_2)
	v_add_co_u32 v11, vcc_lo, v13, v11
	v_add_co_ci_u32_e32 v11, vcc_lo, v14, v16, vcc_lo
	v_add_co_ci_u32_e32 v13, vcc_lo, 0, v17, vcc_lo
	v_ashrrev_i32_e32 v16, 31, v12
	s_delay_alu instid0(VALU_DEP_3) | instskip(NEXT) | instid1(VALU_DEP_3)
	v_add_co_u32 v10, vcc_lo, v11, v10
	v_add_co_ci_u32_e32 v11, vcc_lo, 0, v13, vcc_lo
	s_delay_alu instid0(VALU_DEP_2) | instskip(NEXT) | instid1(VALU_DEP_2)
	v_add_co_u32 v6, vcc_lo, v6, v10
	v_add_co_ci_u32_e32 v7, vcc_lo, v7, v11, vcc_lo
	s_delay_alu instid0(VALU_DEP_2) | instskip(SKIP_1) | instid1(VALU_DEP_3)
	v_mul_hi_u32 v10, s2, v6
	v_mul_lo_u32 v13, s5, v6
	v_mul_lo_u32 v11, s2, v7
	s_delay_alu instid0(VALU_DEP_1) | instskip(SKIP_1) | instid1(VALU_DEP_2)
	v_add_nc_u32_e32 v10, v10, v11
	v_mul_lo_u32 v11, s2, v6
	v_add_nc_u32_e32 v10, v10, v13
	s_delay_alu instid0(VALU_DEP_2) | instskip(NEXT) | instid1(VALU_DEP_2)
	v_mul_hi_u32 v13, v6, v11
	v_mul_lo_u32 v14, v6, v10
	v_mul_hi_u32 v15, v6, v10
	v_mul_hi_u32 v17, v7, v11
	v_mul_lo_u32 v11, v7, v11
	v_mul_hi_u32 v18, v7, v10
	v_mul_lo_u32 v10, v7, v10
	v_add_co_u32 v13, vcc_lo, v13, v14
	v_add_co_ci_u32_e32 v14, vcc_lo, 0, v15, vcc_lo
	s_delay_alu instid0(VALU_DEP_2) | instskip(NEXT) | instid1(VALU_DEP_2)
	v_add_co_u32 v11, vcc_lo, v13, v11
	v_add_co_ci_u32_e32 v11, vcc_lo, v14, v17, vcc_lo
	v_add_co_ci_u32_e32 v13, vcc_lo, 0, v18, vcc_lo
	v_add_co_u32 v14, vcc_lo, v2, v16
	v_add_co_ci_u32_e32 v15, vcc_lo, v12, v16, vcc_lo
	s_delay_alu instid0(VALU_DEP_4) | instskip(NEXT) | instid1(VALU_DEP_4)
	v_add_co_u32 v10, vcc_lo, v11, v10
	v_add_co_ci_u32_e32 v11, vcc_lo, 0, v13, vcc_lo
	s_delay_alu instid0(VALU_DEP_4) | instskip(NEXT) | instid1(VALU_DEP_3)
	v_xor_b32_e32 v17, v14, v16
	v_add_co_u32 v13, vcc_lo, v6, v10
	s_delay_alu instid0(VALU_DEP_3) | instskip(SKIP_1) | instid1(VALU_DEP_3)
	v_add_co_ci_u32_e32 v18, vcc_lo, v7, v11, vcc_lo
	v_xor_b32_e32 v15, v15, v16
	v_mul_hi_u32 v19, v17, v13
	s_delay_alu instid0(VALU_DEP_3) | instskip(NEXT) | instid1(VALU_DEP_3)
	v_mad_u64_u32 v[6:7], null, v17, v18, 0
	v_mad_u64_u32 v[10:11], null, v15, v13, 0
	;; [unrolled: 1-line block ×3, first 2 shown]
	s_delay_alu instid0(VALU_DEP_3) | instskip(NEXT) | instid1(VALU_DEP_4)
	v_add_co_u32 v6, vcc_lo, v19, v6
	v_add_co_ci_u32_e32 v7, vcc_lo, 0, v7, vcc_lo
	s_delay_alu instid0(VALU_DEP_2) | instskip(NEXT) | instid1(VALU_DEP_2)
	v_add_co_u32 v6, vcc_lo, v6, v10
	v_add_co_ci_u32_e32 v6, vcc_lo, v7, v11, vcc_lo
	v_add_co_ci_u32_e32 v7, vcc_lo, 0, v14, vcc_lo
	s_delay_alu instid0(VALU_DEP_2) | instskip(NEXT) | instid1(VALU_DEP_2)
	v_add_co_u32 v10, vcc_lo, v6, v13
	v_add_co_ci_u32_e32 v11, vcc_lo, 0, v7, vcc_lo
	s_delay_alu instid0(VALU_DEP_2) | instskip(SKIP_1) | instid1(VALU_DEP_3)
	v_mul_lo_u32 v13, s9, v10
	v_mad_u64_u32 v[6:7], null, s8, v10, 0
	v_mul_lo_u32 v14, s8, v11
	s_delay_alu instid0(VALU_DEP_2) | instskip(NEXT) | instid1(VALU_DEP_2)
	v_sub_co_u32 v6, vcc_lo, v17, v6
	v_add3_u32 v7, v7, v14, v13
	s_delay_alu instid0(VALU_DEP_1) | instskip(NEXT) | instid1(VALU_DEP_1)
	v_sub_nc_u32_e32 v13, v15, v7
	v_subrev_co_ci_u32_e64 v13, s2, s9, v13, vcc_lo
	v_add_co_u32 v14, s2, v10, 2
	s_delay_alu instid0(VALU_DEP_1) | instskip(SKIP_3) | instid1(VALU_DEP_3)
	v_add_co_ci_u32_e64 v17, s2, 0, v11, s2
	v_sub_co_u32 v18, s2, v6, s8
	v_sub_co_ci_u32_e32 v7, vcc_lo, v15, v7, vcc_lo
	v_subrev_co_ci_u32_e64 v13, s2, 0, v13, s2
	v_cmp_le_u32_e32 vcc_lo, s8, v18
	s_delay_alu instid0(VALU_DEP_3) | instskip(SKIP_1) | instid1(VALU_DEP_4)
	v_cmp_eq_u32_e64 s2, s9, v7
	v_cndmask_b32_e64 v15, 0, -1, vcc_lo
	v_cmp_le_u32_e32 vcc_lo, s9, v13
	v_cndmask_b32_e64 v18, 0, -1, vcc_lo
	v_cmp_le_u32_e32 vcc_lo, s8, v6
	;; [unrolled: 2-line block ×3, first 2 shown]
	v_cndmask_b32_e64 v19, 0, -1, vcc_lo
	v_cmp_eq_u32_e32 vcc_lo, s9, v13
	s_delay_alu instid0(VALU_DEP_2) | instskip(SKIP_3) | instid1(VALU_DEP_3)
	v_cndmask_b32_e64 v6, v19, v6, s2
	v_cndmask_b32_e32 v13, v18, v15, vcc_lo
	v_add_co_u32 v15, vcc_lo, v10, 1
	v_add_co_ci_u32_e32 v18, vcc_lo, 0, v11, vcc_lo
	v_cmp_ne_u32_e32 vcc_lo, 0, v13
	s_delay_alu instid0(VALU_DEP_3) | instskip(NEXT) | instid1(VALU_DEP_3)
	v_cndmask_b32_e32 v13, v15, v14, vcc_lo
	v_cndmask_b32_e32 v7, v18, v17, vcc_lo
	v_cmp_ne_u32_e32 vcc_lo, 0, v6
	v_xor_b32_e32 v14, s4, v16
	s_delay_alu instid0(VALU_DEP_3) | instskip(NEXT) | instid1(VALU_DEP_1)
	v_dual_cndmask_b32 v6, v11, v7 :: v_dual_cndmask_b32 v7, v10, v13
	v_xor_b32_e32 v10, v6, v14
	s_delay_alu instid0(VALU_DEP_2) | instskip(NEXT) | instid1(VALU_DEP_1)
	v_xor_b32_e32 v7, v7, v14
	v_sub_co_u32 v6, vcc_lo, v7, v14
	s_delay_alu instid0(VALU_DEP_3)
	v_sub_co_ci_u32_e32 v7, vcc_lo, v10, v14, vcc_lo
.LBB2_10:
	s_and_not1_saveexec_b32 s2, s3
	s_cbranch_execz .LBB2_12
; %bb.11:
	v_cvt_f32_u32_e32 v6, s6
	s_sub_i32 s3, 0, s6
	s_delay_alu instid0(VALU_DEP_1) | instskip(SKIP_2) | instid1(VALU_DEP_1)
	v_rcp_iflag_f32_e32 v6, v6
	s_waitcnt_depctr 0xfff
	v_mul_f32_e32 v6, 0x4f7ffffe, v6
	v_cvt_u32_f32_e32 v6, v6
	s_delay_alu instid0(VALU_DEP_1) | instskip(NEXT) | instid1(VALU_DEP_1)
	v_mul_lo_u32 v7, s3, v6
	v_mul_hi_u32 v7, v6, v7
	s_delay_alu instid0(VALU_DEP_1) | instskip(NEXT) | instid1(VALU_DEP_1)
	v_add_nc_u32_e32 v6, v6, v7
	v_mul_hi_u32 v6, v2, v6
	s_delay_alu instid0(VALU_DEP_1) | instskip(SKIP_1) | instid1(VALU_DEP_2)
	v_mul_lo_u32 v7, v6, s6
	v_add_nc_u32_e32 v10, 1, v6
	v_sub_nc_u32_e32 v7, v2, v7
	s_delay_alu instid0(VALU_DEP_1) | instskip(SKIP_1) | instid1(VALU_DEP_2)
	v_subrev_nc_u32_e32 v11, s6, v7
	v_cmp_le_u32_e32 vcc_lo, s6, v7
	v_dual_cndmask_b32 v7, v7, v11 :: v_dual_cndmask_b32 v6, v6, v10
	s_delay_alu instid0(VALU_DEP_1) | instskip(NEXT) | instid1(VALU_DEP_2)
	v_cmp_le_u32_e32 vcc_lo, s6, v7
	v_dual_mov_b32 v7, 0 :: v_dual_add_nc_u32 v10, 1, v6
	s_delay_alu instid0(VALU_DEP_1)
	v_cndmask_b32_e32 v6, v6, v10, vcc_lo
.LBB2_12:
	s_or_b32 exec_lo, exec_lo, s2
	s_delay_alu instid0(VALU_DEP_1) | instskip(NEXT) | instid1(VALU_DEP_2)
	v_mul_lo_u32 v13, v7, s6
	v_mul_lo_u32 v14, v6, s7
	v_mad_u64_u32 v[10:11], null, v6, s6, 0
	s_delay_alu instid0(VALU_DEP_1) | instskip(NEXT) | instid1(VALU_DEP_2)
	v_add3_u32 v11, v11, v14, v13
	v_sub_co_u32 v2, vcc_lo, v2, v10
	s_delay_alu instid0(VALU_DEP_2) | instskip(SKIP_1) | instid1(VALU_DEP_2)
	v_sub_co_ci_u32_e32 v14, vcc_lo, v12, v11, vcc_lo
	v_mov_b32_e32 v12, 0
	v_or_b32_e32 v13, s57, v14
	s_delay_alu instid0(VALU_DEP_1) | instskip(SKIP_1) | instid1(SALU_CYCLE_1)
	v_cmp_ne_u64_e32 vcc_lo, 0, v[12:13]
                                        ; implicit-def: $vgpr12_vgpr13
	s_and_saveexec_b32 s2, vcc_lo
	s_xor_b32 s3, exec_lo, s2
	s_cbranch_execz .LBB2_14
; %bb.13:
	s_ashr_i32 s4, s57, 31
	s_delay_alu instid0(SALU_CYCLE_1) | instskip(SKIP_2) | instid1(SALU_CYCLE_1)
	s_add_u32 s6, s56, s4
	s_mov_b32 s5, s4
	s_addc_u32 s7, s57, s4
	s_xor_b64 s[6:7], s[6:7], s[4:5]
	s_delay_alu instid0(SALU_CYCLE_1) | instskip(SKIP_3) | instid1(VALU_DEP_1)
	v_cvt_f32_u32_e32 v3, s6
	v_cvt_f32_u32_e32 v12, s7
	s_sub_u32 s2, 0, s6
	s_subb_u32 s5, 0, s7
	v_fmamk_f32 v3, v12, 0x4f800000, v3
	s_delay_alu instid0(VALU_DEP_1) | instskip(SKIP_2) | instid1(VALU_DEP_1)
	v_rcp_f32_e32 v3, v3
	s_waitcnt_depctr 0xfff
	v_mul_f32_e32 v3, 0x5f7ffffc, v3
	v_mul_f32_e32 v12, 0x2f800000, v3
	s_delay_alu instid0(VALU_DEP_1) | instskip(NEXT) | instid1(VALU_DEP_1)
	v_trunc_f32_e32 v12, v12
	v_fmamk_f32 v3, v12, 0xcf800000, v3
	v_cvt_u32_f32_e32 v12, v12
	s_delay_alu instid0(VALU_DEP_2) | instskip(NEXT) | instid1(VALU_DEP_2)
	v_cvt_u32_f32_e32 v3, v3
	v_mul_lo_u32 v13, s2, v12
	s_delay_alu instid0(VALU_DEP_2) | instskip(SKIP_1) | instid1(VALU_DEP_2)
	v_mul_hi_u32 v15, s2, v3
	v_mul_lo_u32 v16, s5, v3
	v_add_nc_u32_e32 v13, v15, v13
	v_mul_lo_u32 v15, s2, v3
	s_delay_alu instid0(VALU_DEP_2) | instskip(NEXT) | instid1(VALU_DEP_2)
	v_add_nc_u32_e32 v13, v13, v16
	v_mul_hi_u32 v16, v3, v15
	s_delay_alu instid0(VALU_DEP_2)
	v_mul_lo_u32 v17, v3, v13
	v_mul_hi_u32 v18, v3, v13
	v_mul_hi_u32 v19, v12, v15
	v_mul_lo_u32 v15, v12, v15
	v_mul_hi_u32 v20, v12, v13
	v_mul_lo_u32 v13, v12, v13
	v_add_co_u32 v16, vcc_lo, v16, v17
	v_add_co_ci_u32_e32 v17, vcc_lo, 0, v18, vcc_lo
	s_delay_alu instid0(VALU_DEP_2) | instskip(NEXT) | instid1(VALU_DEP_2)
	v_add_co_u32 v15, vcc_lo, v16, v15
	v_add_co_ci_u32_e32 v15, vcc_lo, v17, v19, vcc_lo
	v_add_co_ci_u32_e32 v16, vcc_lo, 0, v20, vcc_lo
	v_ashrrev_i32_e32 v19, 31, v14
	s_delay_alu instid0(VALU_DEP_3) | instskip(NEXT) | instid1(VALU_DEP_3)
	v_add_co_u32 v13, vcc_lo, v15, v13
	v_add_co_ci_u32_e32 v15, vcc_lo, 0, v16, vcc_lo
	s_delay_alu instid0(VALU_DEP_2) | instskip(NEXT) | instid1(VALU_DEP_2)
	v_add_co_u32 v3, vcc_lo, v3, v13
	v_add_co_ci_u32_e32 v12, vcc_lo, v12, v15, vcc_lo
	s_delay_alu instid0(VALU_DEP_2) | instskip(SKIP_1) | instid1(VALU_DEP_3)
	v_mul_hi_u32 v13, s2, v3
	v_mul_lo_u32 v16, s5, v3
	v_mul_lo_u32 v15, s2, v12
	s_delay_alu instid0(VALU_DEP_1) | instskip(SKIP_1) | instid1(VALU_DEP_2)
	v_add_nc_u32_e32 v13, v13, v15
	v_mul_lo_u32 v15, s2, v3
	v_add_nc_u32_e32 v13, v13, v16
	s_delay_alu instid0(VALU_DEP_2) | instskip(NEXT) | instid1(VALU_DEP_2)
	v_mul_hi_u32 v16, v3, v15
	v_mul_lo_u32 v17, v3, v13
	v_mul_hi_u32 v18, v3, v13
	v_mul_hi_u32 v20, v12, v15
	v_mul_lo_u32 v15, v12, v15
	v_mul_hi_u32 v21, v12, v13
	v_mul_lo_u32 v13, v12, v13
	v_add_co_u32 v16, vcc_lo, v16, v17
	v_add_co_ci_u32_e32 v17, vcc_lo, 0, v18, vcc_lo
	s_delay_alu instid0(VALU_DEP_2) | instskip(NEXT) | instid1(VALU_DEP_2)
	v_add_co_u32 v15, vcc_lo, v16, v15
	v_add_co_ci_u32_e32 v15, vcc_lo, v17, v20, vcc_lo
	v_add_co_ci_u32_e32 v16, vcc_lo, 0, v21, vcc_lo
	v_add_co_u32 v2, vcc_lo, v2, v19
	v_add_co_ci_u32_e32 v14, vcc_lo, v14, v19, vcc_lo
	s_delay_alu instid0(VALU_DEP_4) | instskip(NEXT) | instid1(VALU_DEP_4)
	v_add_co_u32 v13, vcc_lo, v15, v13
	v_add_co_ci_u32_e32 v15, vcc_lo, 0, v16, vcc_lo
	s_delay_alu instid0(VALU_DEP_4) | instskip(NEXT) | instid1(VALU_DEP_3)
	v_xor_b32_e32 v16, v2, v19
	v_add_co_u32 v17, vcc_lo, v3, v13
	s_delay_alu instid0(VALU_DEP_3) | instskip(SKIP_1) | instid1(VALU_DEP_3)
	v_add_co_ci_u32_e32 v18, vcc_lo, v12, v15, vcc_lo
	v_xor_b32_e32 v20, v14, v19
	v_mul_hi_u32 v21, v16, v17
	s_delay_alu instid0(VALU_DEP_3) | instskip(NEXT) | instid1(VALU_DEP_3)
	v_mad_u64_u32 v[2:3], null, v16, v18, 0
	v_mad_u64_u32 v[12:13], null, v20, v17, 0
	;; [unrolled: 1-line block ×3, first 2 shown]
	s_delay_alu instid0(VALU_DEP_3) | instskip(NEXT) | instid1(VALU_DEP_4)
	v_add_co_u32 v2, vcc_lo, v21, v2
	v_add_co_ci_u32_e32 v3, vcc_lo, 0, v3, vcc_lo
	s_delay_alu instid0(VALU_DEP_2) | instskip(NEXT) | instid1(VALU_DEP_2)
	v_add_co_u32 v2, vcc_lo, v2, v12
	v_add_co_ci_u32_e32 v2, vcc_lo, v3, v13, vcc_lo
	v_add_co_ci_u32_e32 v3, vcc_lo, 0, v15, vcc_lo
	s_delay_alu instid0(VALU_DEP_2) | instskip(NEXT) | instid1(VALU_DEP_2)
	v_add_co_u32 v12, vcc_lo, v2, v14
	v_add_co_ci_u32_e32 v13, vcc_lo, 0, v3, vcc_lo
	s_delay_alu instid0(VALU_DEP_2) | instskip(SKIP_1) | instid1(VALU_DEP_3)
	v_mul_lo_u32 v14, s7, v12
	v_mad_u64_u32 v[2:3], null, s6, v12, 0
	v_mul_lo_u32 v15, s6, v13
	s_delay_alu instid0(VALU_DEP_2) | instskip(NEXT) | instid1(VALU_DEP_2)
	v_sub_co_u32 v2, vcc_lo, v16, v2
	v_add3_u32 v3, v3, v15, v14
	s_delay_alu instid0(VALU_DEP_1) | instskip(NEXT) | instid1(VALU_DEP_1)
	v_sub_nc_u32_e32 v14, v20, v3
	v_subrev_co_ci_u32_e64 v14, s2, s7, v14, vcc_lo
	v_add_co_u32 v15, s2, v12, 2
	s_delay_alu instid0(VALU_DEP_1) | instskip(SKIP_3) | instid1(VALU_DEP_3)
	v_add_co_ci_u32_e64 v16, s2, 0, v13, s2
	v_sub_co_u32 v17, s2, v2, s6
	v_sub_co_ci_u32_e32 v3, vcc_lo, v20, v3, vcc_lo
	v_subrev_co_ci_u32_e64 v14, s2, 0, v14, s2
	v_cmp_le_u32_e32 vcc_lo, s6, v17
	s_delay_alu instid0(VALU_DEP_3) | instskip(SKIP_1) | instid1(VALU_DEP_4)
	v_cmp_eq_u32_e64 s2, s7, v3
	v_cndmask_b32_e64 v17, 0, -1, vcc_lo
	v_cmp_le_u32_e32 vcc_lo, s7, v14
	v_cndmask_b32_e64 v18, 0, -1, vcc_lo
	v_cmp_le_u32_e32 vcc_lo, s6, v2
	;; [unrolled: 2-line block ×3, first 2 shown]
	v_cndmask_b32_e64 v20, 0, -1, vcc_lo
	v_cmp_eq_u32_e32 vcc_lo, s7, v14
	s_delay_alu instid0(VALU_DEP_2) | instskip(SKIP_3) | instid1(VALU_DEP_3)
	v_cndmask_b32_e64 v2, v20, v2, s2
	v_cndmask_b32_e32 v14, v18, v17, vcc_lo
	v_add_co_u32 v17, vcc_lo, v12, 1
	v_add_co_ci_u32_e32 v18, vcc_lo, 0, v13, vcc_lo
	v_cmp_ne_u32_e32 vcc_lo, 0, v14
	s_delay_alu instid0(VALU_DEP_2) | instskip(SKIP_2) | instid1(VALU_DEP_3)
	v_dual_cndmask_b32 v14, v17, v15 :: v_dual_cndmask_b32 v3, v18, v16
	v_cmp_ne_u32_e32 vcc_lo, 0, v2
	v_xor_b32_e32 v2, s4, v19
	v_dual_cndmask_b32 v12, v12, v14 :: v_dual_cndmask_b32 v3, v13, v3
	s_delay_alu instid0(VALU_DEP_1) | instskip(NEXT) | instid1(VALU_DEP_2)
	v_xor_b32_e32 v12, v12, v2
	v_xor_b32_e32 v3, v3, v2
	s_delay_alu instid0(VALU_DEP_2) | instskip(NEXT) | instid1(VALU_DEP_2)
	v_sub_co_u32 v12, vcc_lo, v12, v2
	v_sub_co_ci_u32_e32 v13, vcc_lo, v3, v2, vcc_lo
                                        ; implicit-def: $vgpr3
                                        ; implicit-def: $vgpr2
.LBB2_14:
	s_and_not1_saveexec_b32 s2, s3
	s_cbranch_execz .LBB2_16
; %bb.15:
	v_rcp_iflag_f32_e32 v3, v3
	s_sub_i32 s3, 0, s56
	s_waitcnt_depctr 0xfff
	v_mul_f32_e32 v3, 0x4f7ffffe, v3
	s_delay_alu instid0(VALU_DEP_1) | instskip(NEXT) | instid1(VALU_DEP_1)
	v_cvt_u32_f32_e32 v3, v3
	v_mul_lo_u32 v12, s3, v3
	s_delay_alu instid0(VALU_DEP_1) | instskip(NEXT) | instid1(VALU_DEP_1)
	v_mul_hi_u32 v12, v3, v12
	v_add_nc_u32_e32 v3, v3, v12
	s_delay_alu instid0(VALU_DEP_1) | instskip(NEXT) | instid1(VALU_DEP_1)
	v_mul_hi_u32 v3, v2, v3
	v_mul_lo_u32 v12, v3, s56
	s_delay_alu instid0(VALU_DEP_1) | instskip(SKIP_1) | instid1(VALU_DEP_2)
	v_sub_nc_u32_e32 v2, v2, v12
	v_add_nc_u32_e32 v12, 1, v3
	v_subrev_nc_u32_e32 v13, s56, v2
	v_cmp_le_u32_e32 vcc_lo, s56, v2
	s_delay_alu instid0(VALU_DEP_2) | instskip(NEXT) | instid1(VALU_DEP_4)
	v_dual_cndmask_b32 v2, v2, v13 :: v_dual_mov_b32 v13, 0
	v_cndmask_b32_e32 v3, v3, v12, vcc_lo
	s_delay_alu instid0(VALU_DEP_2) | instskip(NEXT) | instid1(VALU_DEP_2)
	v_cmp_le_u32_e32 vcc_lo, s56, v2
	v_add_nc_u32_e32 v12, 1, v3
	s_delay_alu instid0(VALU_DEP_1)
	v_cndmask_b32_e32 v12, v3, v12, vcc_lo
.LBB2_16:
	s_or_b32 exec_lo, exec_lo, s2
	s_clause 0x5
	s_load_b256 s[4:11], s[0:1], 0xf8
	s_load_b128 s[48:51], s[0:1], 0x0
	s_load_b256 s[36:43], s[0:1], 0x18
	s_load_b512 s[16:31], s[0:1], 0xb0
	s_load_b32 s2, s[0:1], 0x118
	s_load_b64 s[54:55], s[0:1], 0xf0
	s_mov_b32 s52, 0
	s_delay_alu instid0(SALU_CYCLE_1)
	s_mov_b32 s13, s52
	s_waitcnt lgkmcnt(0)
	s_ashr_i32 s0, s10, 31
	v_mul_lo_u32 v16, v9, s10
	v_mad_u64_u32 v[2:3], null, v8, s10, 0
	v_mul_lo_u32 v18, v8, s0
	s_ashr_i32 s1, s7, 31
	s_ashr_i32 s3, s11, 31
	v_mul_lo_u32 v17, v13, s11
	v_mad_u64_u32 v[14:15], null, v12, s11, 0
	s_delay_alu instid0(VALU_DEP_4) | instskip(NEXT) | instid1(VALU_DEP_4)
	v_sub_co_u32 v2, vcc_lo, v2, s7
	v_add3_u32 v3, v3, v18, v16
	v_mul_lo_u32 v19, v12, s3
	s_ashr_i32 s3, s2, 31
	v_mul_lo_u32 v7, v7, s2
	v_mul_lo_u32 v20, v6, s3
	v_subrev_co_ci_u32_e32 v3, vcc_lo, s1, v3, vcc_lo
	v_add_co_u32 v4, vcc_lo, v10, v4
	v_add_co_ci_u32_e32 v5, vcc_lo, v11, v5, vcc_lo
	v_add3_u32 v17, v15, v19, v17
	v_mad_u64_u32 v[10:11], null, v6, s2, 0
	v_mul_lo_u32 v6, v12, s57
	v_mul_lo_u32 v13, v13, s56
	v_mad_u64_u32 v[15:16], null, v12, s56, v[4:5]
	v_sub_co_u32 v4, vcc_lo, v14, s8
	v_cvt_f32_u32_e32 v12, s24
	v_cvt_f32_u32_e32 v14, s44
	v_add3_u32 v7, v11, v20, v7
	s_ashr_i32 s0, s8, 31
	v_add3_u32 v11, v13, v16, v6
	v_rcp_iflag_f32_e32 v12, v12
	v_rcp_iflag_f32_e32 v13, v14
	v_subrev_co_ci_u32_e32 v5, vcc_lo, s0, v17, vcc_lo
	s_ashr_i32 s0, s9, 31
	v_sub_co_u32 v6, vcc_lo, v10, s9
	v_subrev_co_ci_u32_e32 v7, vcc_lo, s0, v7, vcc_lo
	v_add_co_u32 v8, vcc_lo, v15, v8
	s_waitcnt_depctr 0xfff
	v_mul_f32_e32 v10, 0x4f7ffffe, v12
	v_mul_f32_e32 v12, 0x4f7ffffe, v13
	v_cmp_lt_i64_e64 s7, s[12:13], s[22:23]
	v_add_co_ci_u32_e32 v9, vcc_lo, v11, v9, vcc_lo
	v_mov_b32_e32 v11, 0
	v_cvt_u32_f32_e32 v24, v10
	v_cvt_u32_f32_e32 v25, v12
	s_ashr_i32 s33, s4, 31
	s_ashr_i32 s59, s5, 31
	;; [unrolled: 1-line block ×3, first 2 shown]
	s_sub_u32 s62, 0, s24
	s_mov_b32 s58, s4
	s_mov_b32 s60, s5
	s_subb_u32 s63, 0, s25
	s_branch .LBB2_18
.LBB2_17:                               ;   in Loop: Header=BB2_18 Depth=1
	s_add_u32 s14, s14, 0xffff
	s_addc_u32 s15, s15, 0
	s_delay_alu instid0(SALU_CYCLE_1) | instskip(NEXT) | instid1(VALU_DEP_1)
	v_cmp_ge_i64_e64 s0, s[14:15], s[46:47]
	s_and_b32 vcc_lo, exec_lo, s0
	s_cbranch_vccnz .LBB2_39
.LBB2_18:                               ; =>This Loop Header: Depth=1
                                        ;     Child Loop BB2_21 Depth 2
	s_and_not1_b32 vcc_lo, exec_lo, s7
	s_cbranch_vccnz .LBB2_17
; %bb.19:                               ;   in Loop: Header=BB2_18 Depth=1
	v_mad_u64_u32 v[14:15], null, s14, s58, v[2:3]
	s_mul_i32 s0, s15, s58
	s_mul_i32 s1, s14, s33
	v_mad_u64_u32 v[12:13], null, s14, s34, v[8:9]
	s_mul_i32 s2, s15, s34
	s_mul_i32 s3, s14, s35
	s_delay_alu instid0(VALU_DEP_2) | instskip(NEXT) | instid1(VALU_DEP_3)
	v_add3_u32 v15, s1, s0, v15
	v_mul_lo_u32 v10, v14, s55
	v_mad_u64_u32 v[16:17], null, v14, s54, 0
	s_delay_alu instid0(VALU_DEP_4) | instskip(NEXT) | instid1(VALU_DEP_4)
	v_add3_u32 v13, s3, s2, v13
	v_mul_lo_u32 v18, v15, s54
	v_cmp_gt_i64_e64 s0, 0, v[14:15]
	v_cmp_gt_i64_e64 s1, s[42:43], v[14:15]
	s_mov_b64 s[4:5], s[12:13]
	s_delay_alu instid0(VALU_DEP_3) | instskip(NEXT) | instid1(VALU_DEP_1)
	v_add3_u32 v17, v17, v10, v18
	v_lshlrev_b64 v[14:15], 2, v[16:17]
	s_branch .LBB2_21
.LBB2_20:                               ;   in Loop: Header=BB2_21 Depth=2
	s_or_b32 exec_lo, exec_lo, s2
	s_add_u32 s4, s4, 0xffff
	s_addc_u32 s5, s5, 0
	s_delay_alu instid0(SALU_CYCLE_1) | instskip(NEXT) | instid1(VALU_DEP_1)
	v_cmp_ge_i64_e64 s2, s[4:5], s[22:23]
	s_and_b32 vcc_lo, exec_lo, s2
	s_cbranch_vccnz .LBB2_17
.LBB2_21:                               ;   Parent Loop BB2_18 Depth=1
                                        ; =>  This Inner Loop Header: Depth=2
	s_or_b64 s[2:3], s[4:5], s[24:25]
	s_delay_alu instid0(SALU_CYCLE_1) | instskip(NEXT) | instid1(SALU_CYCLE_1)
	s_mov_b32 s53, s3
	s_cmp_lg_u64 s[52:53], 0
	s_cbranch_scc0 .LBB2_36
; %bb.22:                               ;   in Loop: Header=BB2_21 Depth=2
	s_ashr_i32 s2, s25, 31
	s_delay_alu instid0(SALU_CYCLE_1) | instskip(SKIP_2) | instid1(SALU_CYCLE_1)
	s_add_u32 s8, s24, s2
	s_mov_b32 s3, s2
	s_addc_u32 s9, s25, s2
	s_xor_b64 s[8:9], s[8:9], s[2:3]
	s_delay_alu instid0(SALU_CYCLE_1) | instskip(SKIP_3) | instid1(VALU_DEP_1)
	v_cvt_f32_u32_e32 v10, s8
	v_cvt_f32_u32_e32 v16, s9
	s_sub_u32 s53, 0, s8
	s_subb_u32 s56, 0, s9
	v_fmac_f32_e32 v10, 0x4f800000, v16
	s_delay_alu instid0(VALU_DEP_1) | instskip(SKIP_2) | instid1(VALU_DEP_1)
	v_rcp_f32_e32 v10, v10
	s_waitcnt_depctr 0xfff
	v_mul_f32_e32 v10, 0x5f7ffffc, v10
	v_mul_f32_e32 v16, 0x2f800000, v10
	s_delay_alu instid0(VALU_DEP_1) | instskip(NEXT) | instid1(VALU_DEP_1)
	v_trunc_f32_e32 v16, v16
	v_fmac_f32_e32 v10, 0xcf800000, v16
	v_cvt_u32_f32_e32 v16, v16
	s_delay_alu instid0(VALU_DEP_2) | instskip(NEXT) | instid1(VALU_DEP_2)
	v_cvt_u32_f32_e32 v10, v10
	v_readfirstlane_b32 s10, v16
	s_delay_alu instid0(VALU_DEP_2) | instskip(NEXT) | instid1(VALU_DEP_2)
	v_readfirstlane_b32 s11, v10
	s_mul_i32 s57, s53, s10
	s_delay_alu instid0(VALU_DEP_1)
	s_mul_hi_u32 s65, s53, s11
	s_mul_i32 s64, s56, s11
	s_add_i32 s57, s65, s57
	s_mul_i32 s66, s53, s11
	s_add_i32 s57, s57, s64
	s_mul_hi_u32 s65, s11, s66
	s_mul_hi_u32 s67, s10, s66
	s_mul_i32 s64, s10, s66
	s_mul_hi_u32 s66, s11, s57
	s_mul_i32 s11, s11, s57
	s_mul_hi_u32 s68, s10, s57
	s_add_u32 s11, s65, s11
	s_addc_u32 s65, 0, s66
	s_add_u32 s11, s11, s64
	s_mul_i32 s57, s10, s57
	s_addc_u32 s11, s65, s67
	s_addc_u32 s64, s68, 0
	s_add_u32 s11, s11, s57
	s_addc_u32 s57, 0, s64
	v_add_co_u32 v10, s11, v10, s11
	s_delay_alu instid0(VALU_DEP_1) | instskip(SKIP_1) | instid1(VALU_DEP_1)
	s_cmp_lg_u32 s11, 0
	s_addc_u32 s10, s10, s57
	v_readfirstlane_b32 s11, v10
	s_mul_i32 s57, s53, s10
	s_delay_alu instid0(VALU_DEP_1)
	s_mul_hi_u32 s64, s53, s11
	s_mul_i32 s56, s56, s11
	s_add_i32 s57, s64, s57
	s_mul_i32 s53, s53, s11
	s_add_i32 s57, s57, s56
	s_mul_hi_u32 s64, s10, s53
	s_mul_i32 s65, s10, s53
	s_mul_hi_u32 s53, s11, s53
	s_mul_hi_u32 s66, s11, s57
	s_mul_i32 s11, s11, s57
	s_mul_hi_u32 s56, s10, s57
	s_add_u32 s11, s53, s11
	s_addc_u32 s53, 0, s66
	s_add_u32 s11, s11, s65
	s_mul_i32 s57, s10, s57
	s_addc_u32 s11, s53, s64
	s_addc_u32 s53, s56, 0
	s_add_u32 s11, s11, s57
	s_addc_u32 s53, 0, s53
	v_add_co_u32 v10, s11, v10, s11
	s_delay_alu instid0(VALU_DEP_1) | instskip(SKIP_2) | instid1(VALU_DEP_1)
	s_cmp_lg_u32 s11, 0
	s_addc_u32 s53, s10, s53
	s_ashr_i32 s10, s5, 31
	v_readfirstlane_b32 s64, v10
	s_add_u32 s56, s4, s10
	s_mov_b32 s11, s10
	s_addc_u32 s57, s5, s10
	s_delay_alu instid0(SALU_CYCLE_1) | instskip(NEXT) | instid1(SALU_CYCLE_1)
	s_xor_b64 s[56:57], s[56:57], s[10:11]
	s_mul_i32 s66, s56, s53
	s_mul_hi_u32 s67, s56, s64
	s_mul_hi_u32 s65, s56, s53
	;; [unrolled: 1-line block ×3, first 2 shown]
	s_mul_i32 s64, s57, s64
	s_add_u32 s66, s67, s66
	s_addc_u32 s65, 0, s65
	s_mul_hi_u32 s68, s57, s53
	s_add_u32 s64, s66, s64
	s_mul_i32 s53, s57, s53
	s_addc_u32 s64, s65, s69
	s_addc_u32 s65, s68, 0
	s_add_u32 s53, s64, s53
	s_addc_u32 s64, 0, s65
	s_mul_i32 s68, s8, s53
	s_mul_hi_u32 s65, s8, s53
	s_mul_i32 s67, s8, s64
	v_sub_co_u32 v10, s56, s56, s68
	s_mul_i32 s66, s9, s53
	s_add_i32 s65, s65, s67
	s_delay_alu instid0(SALU_CYCLE_1) | instskip(NEXT) | instid1(VALU_DEP_1)
	s_add_i32 s65, s65, s66
	v_sub_co_u32 v16, s67, v10, s8
	s_sub_i32 s66, s57, s65
	s_cmp_lg_u32 s56, 0
	s_subb_u32 s66, s66, s9
	s_cmp_lg_u32 s67, 0
	v_readfirstlane_b32 s67, v16
	s_subb_u32 s66, s66, 0
	s_delay_alu instid0(SALU_CYCLE_1) | instskip(SKIP_1) | instid1(VALU_DEP_1)
	s_cmp_ge_u32 s66, s9
	s_cselect_b32 s68, -1, 0
	s_cmp_ge_u32 s67, s8
	s_cselect_b32 s67, -1, 0
	s_cmp_eq_u32 s66, s9
	s_cselect_b32 s66, s67, s68
	s_add_u32 s67, s53, 1
	s_addc_u32 s68, s64, 0
	s_add_u32 s69, s53, 2
	s_addc_u32 s70, s64, 0
	s_cmp_lg_u32 s66, 0
	s_cselect_b32 s66, s69, s67
	s_cselect_b32 s67, s70, s68
	s_cmp_lg_u32 s56, 0
	v_readfirstlane_b32 s56, v10
	s_subb_u32 s57, s57, s65
	s_delay_alu instid0(SALU_CYCLE_1) | instskip(SKIP_1) | instid1(VALU_DEP_1)
	s_cmp_ge_u32 s57, s9
	s_cselect_b32 s65, -1, 0
	s_cmp_ge_u32 s56, s8
	s_cselect_b32 s8, -1, 0
	s_cmp_eq_u32 s57, s9
	s_cselect_b32 s8, s8, s65
	s_delay_alu instid0(SALU_CYCLE_1) | instskip(SKIP_3) | instid1(SALU_CYCLE_1)
	s_cmp_lg_u32 s8, 0
	s_cselect_b32 s9, s67, s64
	s_cselect_b32 s8, s66, s53
	s_xor_b64 s[10:11], s[10:11], s[2:3]
	s_xor_b64 s[8:9], s[8:9], s[10:11]
	s_delay_alu instid0(SALU_CYCLE_1)
	s_sub_u32 s8, s8, s10
	s_subb_u32 s9, s9, s11
	s_cbranch_execnz .LBB2_24
.LBB2_23:                               ;   in Loop: Header=BB2_21 Depth=2
	v_readfirstlane_b32 s2, v24
	s_sub_i32 s3, 0, s24
	s_delay_alu instid0(VALU_DEP_1) | instid1(SALU_CYCLE_1)
	s_mul_i32 s3, s3, s2
	s_delay_alu instid0(SALU_CYCLE_1) | instskip(NEXT) | instid1(SALU_CYCLE_1)
	s_mul_hi_u32 s3, s2, s3
	s_add_i32 s2, s2, s3
	s_delay_alu instid0(SALU_CYCLE_1) | instskip(NEXT) | instid1(SALU_CYCLE_1)
	s_mul_hi_u32 s2, s4, s2
	s_mul_i32 s3, s2, s24
	s_add_i32 s8, s2, 1
	s_sub_i32 s3, s4, s3
	s_delay_alu instid0(SALU_CYCLE_1)
	s_sub_i32 s9, s3, s24
	s_cmp_ge_u32 s3, s24
	s_cselect_b32 s2, s8, s2
	s_cselect_b32 s3, s9, s3
	s_add_i32 s8, s2, 1
	s_cmp_ge_u32 s3, s24
	s_mov_b32 s9, s52
	s_cselect_b32 s8, s8, s2
.LBB2_24:                               ;   in Loop: Header=BB2_21 Depth=2
	s_mul_i32 s2, s62, s9
	s_mul_hi_u32 s3, s62, s8
	s_mul_i32 s10, s62, s8
	s_add_i32 s2, s3, s2
	s_mul_i32 s3, s63, s8
	s_delay_alu instid0(SALU_CYCLE_1) | instskip(SKIP_2) | instid1(SALU_CYCLE_1)
	s_add_i32 s2, s2, s3
	s_add_u32 s10, s4, s10
	s_addc_u32 s11, s5, s2
	s_or_b64 s[2:3], s[10:11], s[44:45]
	s_delay_alu instid0(SALU_CYCLE_1) | instskip(NEXT) | instid1(SALU_CYCLE_1)
	s_mov_b32 s53, s3
	s_cmp_lg_u64 s[52:53], 0
	s_cbranch_scc0 .LBB2_37
; %bb.25:                               ;   in Loop: Header=BB2_21 Depth=2
	s_ashr_i32 s56, s45, 31
	s_delay_alu instid0(SALU_CYCLE_1) | instskip(SKIP_2) | instid1(SALU_CYCLE_1)
	s_add_u32 s2, s44, s56
	s_mov_b32 s57, s56
	s_addc_u32 s3, s45, s56
	s_xor_b64 s[2:3], s[2:3], s[56:57]
	s_delay_alu instid0(SALU_CYCLE_1) | instskip(SKIP_3) | instid1(VALU_DEP_1)
	v_cvt_f32_u32_e32 v10, s2
	v_cvt_f32_u32_e32 v16, s3
	s_sub_u32 s65, 0, s2
	s_subb_u32 s66, 0, s3
	v_fmac_f32_e32 v10, 0x4f800000, v16
	s_delay_alu instid0(VALU_DEP_1) | instskip(SKIP_2) | instid1(VALU_DEP_1)
	v_rcp_f32_e32 v10, v10
	s_waitcnt_depctr 0xfff
	v_mul_f32_e32 v10, 0x5f7ffffc, v10
	v_mul_f32_e32 v16, 0x2f800000, v10
	s_delay_alu instid0(VALU_DEP_1) | instskip(NEXT) | instid1(VALU_DEP_1)
	v_trunc_f32_e32 v16, v16
	v_fmac_f32_e32 v10, 0xcf800000, v16
	v_cvt_u32_f32_e32 v16, v16
	s_delay_alu instid0(VALU_DEP_2) | instskip(NEXT) | instid1(VALU_DEP_2)
	v_cvt_u32_f32_e32 v10, v10
	v_readfirstlane_b32 s53, v16
	s_delay_alu instid0(VALU_DEP_2) | instskip(NEXT) | instid1(VALU_DEP_2)
	v_readfirstlane_b32 s64, v10
	s_mul_i32 s67, s65, s53
	s_delay_alu instid0(VALU_DEP_1)
	s_mul_hi_u32 s69, s65, s64
	s_mul_i32 s68, s66, s64
	s_add_i32 s67, s69, s67
	s_mul_i32 s70, s65, s64
	s_add_i32 s67, s67, s68
	s_mul_hi_u32 s69, s64, s70
	s_mul_hi_u32 s71, s53, s70
	s_mul_i32 s68, s53, s70
	s_mul_hi_u32 s70, s64, s67
	s_mul_i32 s64, s64, s67
	s_mul_hi_u32 s72, s53, s67
	s_add_u32 s64, s69, s64
	s_addc_u32 s69, 0, s70
	s_add_u32 s64, s64, s68
	s_mul_i32 s67, s53, s67
	s_addc_u32 s64, s69, s71
	s_addc_u32 s68, s72, 0
	s_add_u32 s64, s64, s67
	s_addc_u32 s67, 0, s68
	v_add_co_u32 v10, s64, v10, s64
	s_delay_alu instid0(VALU_DEP_1) | instskip(SKIP_1) | instid1(VALU_DEP_1)
	s_cmp_lg_u32 s64, 0
	s_addc_u32 s53, s53, s67
	v_readfirstlane_b32 s64, v10
	s_mul_i32 s67, s65, s53
	s_delay_alu instid0(VALU_DEP_1)
	s_mul_hi_u32 s68, s65, s64
	s_mul_i32 s66, s66, s64
	s_add_i32 s67, s68, s67
	s_mul_i32 s65, s65, s64
	s_add_i32 s67, s67, s66
	s_mul_hi_u32 s68, s53, s65
	s_mul_i32 s69, s53, s65
	s_mul_hi_u32 s65, s64, s65
	s_mul_hi_u32 s70, s64, s67
	s_mul_i32 s64, s64, s67
	s_mul_hi_u32 s66, s53, s67
	s_add_u32 s64, s65, s64
	s_addc_u32 s65, 0, s70
	s_add_u32 s64, s64, s69
	s_mul_i32 s67, s53, s67
	s_addc_u32 s64, s65, s68
	s_addc_u32 s65, s66, 0
	s_add_u32 s64, s64, s67
	s_addc_u32 s65, 0, s65
	v_add_co_u32 v10, s64, v10, s64
	s_delay_alu instid0(VALU_DEP_1) | instskip(SKIP_2) | instid1(SALU_CYCLE_1)
	s_cmp_lg_u32 s64, 0
	s_addc_u32 s53, s53, s65
	s_ashr_i32 s64, s11, 31
	s_add_u32 s66, s10, s64
	s_addc_u32 s67, s11, s64
	v_readfirstlane_b32 s11, v10
	s_mov_b32 s65, s64
	s_delay_alu instid0(SALU_CYCLE_1) | instskip(NEXT) | instid1(SALU_CYCLE_1)
	s_xor_b64 s[66:67], s[66:67], s[64:65]
	s_mul_i32 s69, s66, s53
	s_delay_alu instid0(VALU_DEP_1)
	s_mul_hi_u32 s70, s66, s11
	s_mul_hi_u32 s68, s66, s53
	;; [unrolled: 1-line block ×3, first 2 shown]
	s_mul_i32 s11, s67, s11
	s_add_u32 s69, s70, s69
	s_addc_u32 s68, 0, s68
	s_mul_hi_u32 s71, s67, s53
	s_add_u32 s11, s69, s11
	s_mul_i32 s53, s67, s53
	s_addc_u32 s11, s68, s72
	s_addc_u32 s68, s71, 0
	s_add_u32 s11, s11, s53
	s_addc_u32 s53, 0, s68
	s_mul_i32 s71, s2, s11
	s_mul_hi_u32 s68, s2, s11
	s_mul_i32 s70, s2, s53
	v_sub_co_u32 v10, s66, s66, s71
	s_mul_i32 s69, s3, s11
	s_add_i32 s68, s68, s70
	s_delay_alu instid0(SALU_CYCLE_1) | instskip(NEXT) | instid1(VALU_DEP_1)
	s_add_i32 s68, s68, s69
	v_sub_co_u32 v16, s70, v10, s2
	s_sub_i32 s69, s67, s68
	s_cmp_lg_u32 s66, 0
	s_subb_u32 s69, s69, s3
	s_cmp_lg_u32 s70, 0
	v_cmp_le_u32_e32 vcc_lo, s2, v16
	s_subb_u32 s69, s69, 0
	s_delay_alu instid0(SALU_CYCLE_1)
	s_cmp_ge_u32 s69, s3
	v_cndmask_b32_e64 v16, 0, -1, vcc_lo
	s_cselect_b32 s70, -1, 0
	s_cmp_eq_u32 s69, s3
	s_cselect_b32 vcc_lo, -1, 0
	s_add_u32 s69, s11, 1
	v_cndmask_b32_e32 v16, s70, v16, vcc_lo
	s_addc_u32 s70, s53, 0
	s_add_u32 s71, s11, 2
	s_addc_u32 s72, s53, 0
	v_mov_b32_e32 v17, s71
	s_cmp_lg_u32 s66, 0
	v_cmp_le_u32_e32 vcc_lo, s2, v10
	s_subb_u32 s2, s67, s68
	s_delay_alu instid0(SALU_CYCLE_1)
	s_cmp_ge_u32 s2, s3
	v_cndmask_b32_e64 v10, 0, -1, vcc_lo
	s_cselect_b32 s66, -1, 0
	s_cmp_eq_u32 s2, s3
	v_cmp_ne_u32_e32 vcc_lo, 0, v16
	s_cselect_b32 s2, -1, 0
	v_mov_b32_e32 v16, s72
	v_cndmask_b32_e64 v10, s66, v10, s2
	s_xor_b64 s[2:3], s[64:65], s[56:57]
	v_cndmask_b32_e32 v17, s69, v17, vcc_lo
	s_delay_alu instid0(VALU_DEP_3) | instskip(NEXT) | instid1(VALU_DEP_3)
	v_cndmask_b32_e32 v16, s70, v16, vcc_lo
	v_cmp_ne_u32_e32 vcc_lo, 0, v10
	s_delay_alu instid0(VALU_DEP_2) | instskip(NEXT) | instid1(VALU_DEP_4)
	v_cndmask_b32_e32 v10, s53, v16, vcc_lo
	v_cndmask_b32_e32 v16, s11, v17, vcc_lo
	s_delay_alu instid0(VALU_DEP_2) | instskip(NEXT) | instid1(VALU_DEP_2)
	v_xor_b32_e32 v10, s3, v10
	v_xor_b32_e32 v16, s2, v16
	s_delay_alu instid0(VALU_DEP_1) | instskip(NEXT) | instid1(VALU_DEP_3)
	v_sub_co_u32 v16, vcc_lo, v16, s2
	v_subrev_co_ci_u32_e32 v17, vcc_lo, s3, v10, vcc_lo
	s_cbranch_execnz .LBB2_27
.LBB2_26:                               ;   in Loop: Header=BB2_21 Depth=2
	s_sub_i32 s2, 0, s44
	s_delay_alu instid0(SALU_CYCLE_1) | instskip(NEXT) | instid1(VALU_DEP_1)
	v_mul_lo_u32 v10, s2, v25
	v_mul_hi_u32 v10, v25, v10
	s_delay_alu instid0(VALU_DEP_1) | instskip(NEXT) | instid1(VALU_DEP_1)
	v_add_nc_u32_e32 v10, v25, v10
	v_mul_hi_u32 v10, s10, v10
	s_delay_alu instid0(VALU_DEP_1) | instskip(SKIP_1) | instid1(VALU_DEP_2)
	v_mul_lo_u32 v16, v10, s44
	v_add_nc_u32_e32 v17, 1, v10
	v_sub_nc_u32_e32 v16, s10, v16
	s_delay_alu instid0(VALU_DEP_1) | instskip(SKIP_1) | instid1(VALU_DEP_2)
	v_subrev_nc_u32_e32 v18, s44, v16
	v_cmp_le_u32_e32 vcc_lo, s44, v16
	v_cndmask_b32_e32 v16, v16, v18, vcc_lo
	v_cndmask_b32_e32 v10, v10, v17, vcc_lo
	s_delay_alu instid0(VALU_DEP_2) | instskip(NEXT) | instid1(VALU_DEP_2)
	v_cmp_le_u32_e32 vcc_lo, s44, v16
	v_add_nc_u32_e32 v17, 1, v10
	s_delay_alu instid0(VALU_DEP_1) | instskip(NEXT) | instid1(VALU_DEP_1)
	v_cndmask_b32_e32 v10, v10, v17, vcc_lo
	v_dual_mov_b32 v17, v11 :: v_dual_mov_b32 v16, v10
.LBB2_27:                               ;   in Loop: Header=BB2_21 Depth=2
	s_or_b64 s[2:3], s[4:5], s[44:45]
	s_delay_alu instid0(SALU_CYCLE_1) | instskip(NEXT) | instid1(SALU_CYCLE_1)
	s_mov_b32 s53, s3
	s_cmp_lg_u64 s[52:53], 0
	s_cbranch_scc0 .LBB2_38
; %bb.28:                               ;   in Loop: Header=BB2_21 Depth=2
	s_ashr_i32 s2, s45, 31
	s_delay_alu instid0(SALU_CYCLE_1) | instskip(SKIP_2) | instid1(SALU_CYCLE_1)
	s_add_u32 s10, s44, s2
	s_mov_b32 s3, s2
	s_addc_u32 s11, s45, s2
	s_xor_b64 s[2:3], s[10:11], s[2:3]
	s_delay_alu instid0(SALU_CYCLE_1) | instskip(SKIP_3) | instid1(VALU_DEP_1)
	v_cvt_f32_u32_e32 v10, s2
	v_cvt_f32_u32_e32 v18, s3
	s_sub_u32 s53, 0, s2
	s_subb_u32 s56, 0, s3
	v_fmac_f32_e32 v10, 0x4f800000, v18
	s_delay_alu instid0(VALU_DEP_1) | instskip(SKIP_2) | instid1(VALU_DEP_1)
	v_rcp_f32_e32 v10, v10
	s_waitcnt_depctr 0xfff
	v_mul_f32_e32 v10, 0x5f7ffffc, v10
	v_mul_f32_e32 v18, 0x2f800000, v10
	s_delay_alu instid0(VALU_DEP_1) | instskip(NEXT) | instid1(VALU_DEP_1)
	v_trunc_f32_e32 v18, v18
	v_fmac_f32_e32 v10, 0xcf800000, v18
	v_cvt_u32_f32_e32 v18, v18
	s_delay_alu instid0(VALU_DEP_2) | instskip(NEXT) | instid1(VALU_DEP_2)
	v_cvt_u32_f32_e32 v10, v10
	v_readfirstlane_b32 s10, v18
	s_delay_alu instid0(VALU_DEP_2) | instskip(NEXT) | instid1(VALU_DEP_2)
	v_readfirstlane_b32 s11, v10
	s_mul_i32 s57, s53, s10
	s_delay_alu instid0(VALU_DEP_1)
	s_mul_hi_u32 s65, s53, s11
	s_mul_i32 s64, s56, s11
	s_add_i32 s57, s65, s57
	s_mul_i32 s66, s53, s11
	s_add_i32 s57, s57, s64
	s_mul_hi_u32 s65, s11, s66
	s_mul_hi_u32 s67, s10, s66
	s_mul_i32 s64, s10, s66
	s_mul_hi_u32 s66, s11, s57
	s_mul_i32 s11, s11, s57
	s_mul_hi_u32 s68, s10, s57
	s_add_u32 s11, s65, s11
	s_addc_u32 s65, 0, s66
	s_add_u32 s11, s11, s64
	s_mul_i32 s57, s10, s57
	s_addc_u32 s11, s65, s67
	s_addc_u32 s64, s68, 0
	s_add_u32 s11, s11, s57
	s_addc_u32 s57, 0, s64
	v_add_co_u32 v10, s11, v10, s11
	s_delay_alu instid0(VALU_DEP_1) | instskip(SKIP_1) | instid1(VALU_DEP_1)
	s_cmp_lg_u32 s11, 0
	s_addc_u32 s10, s10, s57
	v_readfirstlane_b32 s11, v10
	s_mul_i32 s57, s53, s10
	s_delay_alu instid0(VALU_DEP_1)
	s_mul_hi_u32 s64, s53, s11
	s_mul_i32 s56, s56, s11
	s_add_i32 s57, s64, s57
	s_mul_i32 s53, s53, s11
	s_add_i32 s57, s57, s56
	s_mul_hi_u32 s64, s10, s53
	s_mul_i32 s65, s10, s53
	s_mul_hi_u32 s53, s11, s53
	s_mul_hi_u32 s66, s11, s57
	s_mul_i32 s11, s11, s57
	s_mul_hi_u32 s56, s10, s57
	s_add_u32 s11, s53, s11
	s_addc_u32 s53, 0, s66
	s_add_u32 s11, s11, s65
	s_mul_i32 s57, s10, s57
	s_addc_u32 s11, s53, s64
	s_addc_u32 s53, s56, 0
	s_add_u32 s11, s11, s57
	s_addc_u32 s53, 0, s53
	v_add_co_u32 v10, s11, v10, s11
	s_delay_alu instid0(VALU_DEP_1) | instskip(SKIP_2) | instid1(VALU_DEP_1)
	s_cmp_lg_u32 s11, 0
	s_addc_u32 s53, s10, s53
	s_ashr_i32 s10, s5, 31
	v_readfirstlane_b32 s64, v10
	s_add_u32 s56, s4, s10
	s_mov_b32 s11, s10
	s_addc_u32 s57, s5, s10
	s_delay_alu instid0(SALU_CYCLE_1) | instskip(NEXT) | instid1(SALU_CYCLE_1)
	s_xor_b64 s[56:57], s[56:57], s[10:11]
	s_mul_i32 s65, s56, s53
	s_mul_hi_u32 s66, s56, s64
	s_mul_hi_u32 s11, s56, s53
	;; [unrolled: 1-line block ×3, first 2 shown]
	s_mul_i32 s64, s57, s64
	s_add_u32 s65, s66, s65
	s_addc_u32 s11, 0, s11
	s_mul_hi_u32 s67, s57, s53
	s_add_u32 s64, s65, s64
	s_mul_i32 s53, s57, s53
	s_addc_u32 s11, s11, s68
	s_addc_u32 s64, s67, 0
	s_add_u32 s11, s11, s53
	s_addc_u32 s53, 0, s64
	s_mul_hi_u32 s64, s2, s11
	s_mul_i32 s53, s2, s53
	s_mul_i32 s65, s3, s11
	;; [unrolled: 1-line block ×3, first 2 shown]
	s_add_i32 s53, s64, s53
	v_sub_co_u32 v10, s11, s56, s11
	s_add_i32 s53, s53, s65
	s_delay_alu instid0(SALU_CYCLE_1) | instskip(SKIP_1) | instid1(VALU_DEP_1)
	s_sub_i32 s56, s57, s53
	s_cmp_lg_u32 s11, 0
	v_sub_co_u32 v18, s64, v10, s2
	s_subb_u32 s56, s56, s3
	s_cmp_lg_u32 s64, 0
	s_subb_u32 s65, s56, 0
	s_delay_alu instid0(VALU_DEP_1)
	v_cmp_le_u32_e32 vcc_lo, s2, v18
	s_cmp_ge_u32 s65, s3
	s_cselect_b32 s66, -1, 0
	s_cmp_eq_u32 s65, s3
	v_cndmask_b32_e64 v19, 0, -1, vcc_lo
	s_cselect_b32 vcc_lo, -1, 0
	s_cmp_lg_u32 s64, 0
	v_sub_co_u32 v20, s64, v18, s2
	s_subb_u32 s56, s56, s3
	s_cmp_lg_u32 s64, 0
	v_cndmask_b32_e32 v19, s66, v19, vcc_lo
	s_subb_u32 s56, s56, 0
	s_cmp_lg_u32 s11, 0
	v_cmp_le_u32_e32 vcc_lo, s2, v10
	s_subb_u32 s11, s57, s53
	s_delay_alu instid0(SALU_CYCLE_1)
	s_cmp_ge_u32 s11, s3
	v_cndmask_b32_e64 v21, 0, -1, vcc_lo
	s_cselect_b32 s53, -1, 0
	s_cmp_eq_u32 s11, s3
	v_cmp_ne_u32_e32 vcc_lo, 0, v19
	v_mov_b32_e32 v19, s56
	s_cselect_b32 s2, -1, 0
	s_delay_alu instid0(SALU_CYCLE_1) | instskip(SKIP_1) | instid1(VALU_DEP_3)
	v_cndmask_b32_e64 v21, s53, v21, s2
	v_cndmask_b32_e32 v18, v18, v20, vcc_lo
	v_cndmask_b32_e32 v19, s65, v19, vcc_lo
	s_delay_alu instid0(VALU_DEP_3) | instskip(NEXT) | instid1(VALU_DEP_3)
	v_cmp_ne_u32_e32 vcc_lo, 0, v21
	v_cndmask_b32_e32 v10, v10, v18, vcc_lo
	s_delay_alu instid0(VALU_DEP_3) | instskip(NEXT) | instid1(VALU_DEP_2)
	v_cndmask_b32_e32 v19, s11, v19, vcc_lo
	v_xor_b32_e32 v10, s10, v10
	s_delay_alu instid0(VALU_DEP_2) | instskip(NEXT) | instid1(VALU_DEP_2)
	v_xor_b32_e32 v18, s10, v19
	v_sub_co_u32 v22, vcc_lo, v10, s10
	s_delay_alu instid0(VALU_DEP_2)
	v_subrev_co_ci_u32_e32 v23, vcc_lo, s10, v18, vcc_lo
	s_cbranch_execnz .LBB2_30
.LBB2_29:                               ;   in Loop: Header=BB2_21 Depth=2
	v_readfirstlane_b32 s2, v25
	s_sub_i32 s3, 0, s44
	s_delay_alu instid0(VALU_DEP_1) | instid1(SALU_CYCLE_1)
	s_mul_i32 s3, s3, s2
	s_delay_alu instid0(SALU_CYCLE_1) | instskip(NEXT) | instid1(SALU_CYCLE_1)
	s_mul_hi_u32 s3, s2, s3
	s_add_i32 s2, s2, s3
	s_delay_alu instid0(SALU_CYCLE_1) | instskip(NEXT) | instid1(SALU_CYCLE_1)
	s_mul_hi_u32 s2, s4, s2
	s_mul_i32 s2, s2, s44
	s_delay_alu instid0(SALU_CYCLE_1) | instskip(NEXT) | instid1(SALU_CYCLE_1)
	s_sub_i32 s2, s4, s2
	s_sub_i32 s3, s2, s44
	s_cmp_ge_u32 s2, s44
	s_cselect_b32 s2, s3, s2
	s_delay_alu instid0(SALU_CYCLE_1) | instskip(SKIP_3) | instid1(SALU_CYCLE_1)
	s_sub_i32 s3, s2, s44
	s_cmp_ge_u32 s2, s44
	s_cselect_b32 s2, s3, s2
	s_mov_b32 s3, s52
	v_dual_mov_b32 v23, s3 :: v_dual_mov_b32 v22, s2
.LBB2_30:                               ;   in Loop: Header=BB2_21 Depth=2
	v_mad_u64_u32 v[18:19], null, s8, s16, v[12:13]
	s_mul_i32 s2, s9, s16
	s_mul_i32 s3, s8, s17
	v_mul_lo_u32 v28, v17, s18
	v_mul_lo_u32 v29, v16, s19
	v_mad_u64_u32 v[20:21], null, v22, s60, v[4:5]
	s_delay_alu instid0(VALU_DEP_4) | instskip(SKIP_1) | instid1(VALU_DEP_2)
	v_add3_u32 v19, s3, s2, v19
	v_mul_lo_u32 v10, v23, s60
	v_mad_u64_u32 v[26:27], null, v16, s18, v[18:19]
	v_mul_lo_u32 v18, v22, s59
	s_delay_alu instid0(VALU_DEP_2) | instskip(NEXT) | instid1(VALU_DEP_2)
	v_add3_u32 v27, v29, v28, v27
	v_add3_u32 v21, v18, v10, v21
	v_mul_lo_u32 v10, v23, s20
	v_mul_lo_u32 v23, v22, s21
	s_delay_alu instid0(VALU_DEP_4) | instskip(NEXT) | instid1(VALU_DEP_4)
	v_mad_u64_u32 v[18:19], null, v22, s20, v[26:27]
	v_cmp_gt_i64_e32 vcc_lo, 0, v[20:21]
	v_cmp_le_i64_e64 s2, s[40:41], v[20:21]
	s_delay_alu instid0(VALU_DEP_3) | instskip(NEXT) | instid1(VALU_DEP_2)
	v_add3_u32 v19, v23, v10, v19
	s_or_b32 s2, vcc_lo, s2
	s_delay_alu instid0(SALU_CYCLE_1) | instskip(NEXT) | instid1(SALU_CYCLE_1)
	s_or_b32 s3, s2, s0
	s_xor_b32 s2, s3, -1
	s_delay_alu instid0(SALU_CYCLE_1)
	s_and_saveexec_b32 s10, s2
	s_cbranch_execz .LBB2_34
; %bb.31:                               ;   in Loop: Header=BB2_21 Depth=2
	v_mad_u64_u32 v[22:23], null, v16, s6, v[6:7]
	v_mul_lo_u32 v10, v17, s6
	v_mul_lo_u32 v16, v16, s61
	s_mov_b32 s11, -1
	s_delay_alu instid0(VALU_DEP_1) | instskip(NEXT) | instid1(VALU_DEP_1)
	v_add3_u32 v23, v16, v10, v23
	v_cmp_lt_i64_e32 vcc_lo, -1, v[22:23]
	v_cmp_gt_i64_e64 s2, s[38:39], v[22:23]
	s_delay_alu instid0(VALU_DEP_1) | instskip(NEXT) | instid1(SALU_CYCLE_1)
	s_and_b32 s2, vcc_lo, s2
	s_and_b32 s53, s1, s2
	s_delay_alu instid0(SALU_CYCLE_1)
	s_and_saveexec_b32 s2, s53
	s_cbranch_execz .LBB2_33
; %bb.32:                               ;   in Loop: Header=BB2_21 Depth=2
	v_mad_u64_u32 v[16:17], null, s8, s36, v[0:1]
	s_mul_i32 s9, s9, s36
	s_mul_i32 s8, s8, s37
	v_mul_lo_u32 v23, v23, s28
	v_mul_lo_u32 v29, v22, s29
	;; [unrolled: 1-line block ×4, first 2 shown]
	v_add3_u32 v10, s8, s9, v17
	v_mul_lo_u32 v28, v16, s27
	v_mad_u64_u32 v[26:27], null, v16, s26, 0
	v_mad_u64_u32 v[16:17], null, v22, s28, 0
	s_delay_alu instid0(VALU_DEP_4) | instskip(SKIP_2) | instid1(VALU_DEP_3)
	v_mul_lo_u32 v10, v10, s26
	v_mad_u64_u32 v[21:22], null, v20, s30, 0
	s_xor_b32 s11, exec_lo, -1
	v_add3_u32 v17, v17, v29, v23
	s_delay_alu instid0(VALU_DEP_3) | instskip(NEXT) | instid1(VALU_DEP_3)
	v_add3_u32 v27, v27, v28, v10
	v_add3_u32 v22, v22, v31, v30
	s_delay_alu instid0(VALU_DEP_3) | instskip(NEXT) | instid1(VALU_DEP_3)
	v_lshlrev_b64 v[16:17], 2, v[16:17]
	v_lshlrev_b64 v[26:27], 2, v[26:27]
	s_delay_alu instid0(VALU_DEP_3) | instskip(NEXT) | instid1(VALU_DEP_2)
	v_lshlrev_b64 v[20:21], 2, v[21:22]
	v_add_co_u32 v10, vcc_lo, s48, v26
	s_delay_alu instid0(VALU_DEP_3) | instskip(NEXT) | instid1(VALU_DEP_2)
	v_add_co_ci_u32_e32 v23, vcc_lo, s49, v27, vcc_lo
	v_add_co_u32 v10, vcc_lo, v10, v16
	s_delay_alu instid0(VALU_DEP_2) | instskip(NEXT) | instid1(VALU_DEP_2)
	v_add_co_ci_u32_e32 v16, vcc_lo, v23, v17, vcc_lo
	v_add_co_u32 v10, vcc_lo, v10, v20
	s_delay_alu instid0(VALU_DEP_2) | instskip(NEXT) | instid1(VALU_DEP_2)
	v_add_co_ci_u32_e32 v17, vcc_lo, v16, v21, vcc_lo
	v_add_co_u32 v16, vcc_lo, v10, v14
	s_delay_alu instid0(VALU_DEP_2) | instskip(SKIP_2) | instid1(VALU_DEP_1)
	v_add_co_ci_u32_e32 v17, vcc_lo, v17, v15, vcc_lo
	global_load_b32 v10, v[16:17], off
	v_lshlrev_b64 v[16:17], 1, v[18:19]
	v_add_co_u32 v16, vcc_lo, s50, v16
	s_delay_alu instid0(VALU_DEP_2)
	v_add_co_ci_u32_e32 v17, vcc_lo, s51, v17, vcc_lo
	s_waitcnt vmcnt(0)
	v_cvt_f16_f32_e32 v10, v10
	global_store_b16 v[16:17], v10, off
.LBB2_33:                               ;   in Loop: Header=BB2_21 Depth=2
	s_or_b32 exec_lo, exec_lo, s2
	s_delay_alu instid0(SALU_CYCLE_1) | instskip(SKIP_1) | instid1(SALU_CYCLE_1)
	s_and_not1_b32 s2, s3, exec_lo
	s_and_b32 s3, s11, exec_lo
	s_or_b32 s3, s2, s3
.LBB2_34:                               ;   in Loop: Header=BB2_21 Depth=2
	s_or_b32 exec_lo, exec_lo, s10
	s_and_saveexec_b32 s2, s3
	s_cbranch_execz .LBB2_20
; %bb.35:                               ;   in Loop: Header=BB2_21 Depth=2
	v_lshlrev_b64 v[16:17], 1, v[18:19]
	s_delay_alu instid0(VALU_DEP_1) | instskip(NEXT) | instid1(VALU_DEP_2)
	v_add_co_u32 v16, vcc_lo, s50, v16
	v_add_co_ci_u32_e32 v17, vcc_lo, s51, v17, vcc_lo
	global_store_b16 v[16:17], v11, off
	s_branch .LBB2_20
.LBB2_36:                               ;   in Loop: Header=BB2_21 Depth=2
                                        ; implicit-def: $sgpr8_sgpr9
	s_branch .LBB2_23
.LBB2_37:                               ;   in Loop: Header=BB2_21 Depth=2
                                        ; implicit-def: $vgpr16_vgpr17
	s_branch .LBB2_26
.LBB2_38:                               ;   in Loop: Header=BB2_21 Depth=2
                                        ; implicit-def: $vgpr22_vgpr23
	s_branch .LBB2_29
.LBB2_39:
	s_nop 0
	s_sendmsg sendmsg(MSG_DEALLOC_VGPRS)
	s_endpgm
.LBB2_40:
                                        ; implicit-def: $vgpr0_vgpr1
	s_branch .LBB2_3
.LBB2_41:
                                        ; implicit-def: $vgpr8_vgpr9
	v_cvt_f32_u32_e32 v3, s56
	s_branch .LBB2_7
	.section	.rodata,"a",@progbits
	.p2align	6, 0x0
	.amdhsa_kernel _ZL16im2col_3d_kernelI6__halfEvPKfPT_llllllllllllllllllllllllllllliiiiiiiii
		.amdhsa_group_segment_fixed_size 0
		.amdhsa_private_segment_fixed_size 0
		.amdhsa_kernarg_size 544
		.amdhsa_user_sgpr_count 13
		.amdhsa_user_sgpr_dispatch_ptr 0
		.amdhsa_user_sgpr_queue_ptr 0
		.amdhsa_user_sgpr_kernarg_segment_ptr 1
		.amdhsa_user_sgpr_dispatch_id 0
		.amdhsa_user_sgpr_private_segment_size 0
		.amdhsa_wavefront_size32 1
		.amdhsa_uses_dynamic_stack 0
		.amdhsa_enable_private_segment 0
		.amdhsa_system_sgpr_workgroup_id_x 1
		.amdhsa_system_sgpr_workgroup_id_y 1
		.amdhsa_system_sgpr_workgroup_id_z 1
		.amdhsa_system_sgpr_workgroup_info 0
		.amdhsa_system_vgpr_workitem_id 0
		.amdhsa_next_free_vgpr 32
		.amdhsa_next_free_sgpr 73
		.amdhsa_reserve_vcc 1
		.amdhsa_float_round_mode_32 0
		.amdhsa_float_round_mode_16_64 0
		.amdhsa_float_denorm_mode_32 3
		.amdhsa_float_denorm_mode_16_64 3
		.amdhsa_dx10_clamp 1
		.amdhsa_ieee_mode 1
		.amdhsa_fp16_overflow 0
		.amdhsa_workgroup_processor_mode 1
		.amdhsa_memory_ordered 1
		.amdhsa_forward_progress 0
		.amdhsa_shared_vgpr_count 0
		.amdhsa_exception_fp_ieee_invalid_op 0
		.amdhsa_exception_fp_denorm_src 0
		.amdhsa_exception_fp_ieee_div_zero 0
		.amdhsa_exception_fp_ieee_overflow 0
		.amdhsa_exception_fp_ieee_underflow 0
		.amdhsa_exception_fp_ieee_inexact 0
		.amdhsa_exception_int_div_zero 0
	.end_amdhsa_kernel
	.section	.text._ZL16im2col_3d_kernelI6__halfEvPKfPT_llllllllllllllllllllllllllllliiiiiiiii,"axG",@progbits,_ZL16im2col_3d_kernelI6__halfEvPKfPT_llllllllllllllllllllllllllllliiiiiiiii,comdat
.Lfunc_end2:
	.size	_ZL16im2col_3d_kernelI6__halfEvPKfPT_llllllllllllllllllllllllllllliiiiiiiii, .Lfunc_end2-_ZL16im2col_3d_kernelI6__halfEvPKfPT_llllllllllllllllllllllllllllliiiiiiiii
                                        ; -- End function
	.section	.AMDGPU.csdata,"",@progbits
; Kernel info:
; codeLenInByte = 7644
; NumSgprs: 75
; NumVgprs: 32
; ScratchSize: 0
; MemoryBound: 0
; FloatMode: 240
; IeeeMode: 1
; LDSByteSize: 0 bytes/workgroup (compile time only)
; SGPRBlocks: 9
; VGPRBlocks: 3
; NumSGPRsForWavesPerEU: 75
; NumVGPRsForWavesPerEU: 32
; Occupancy: 16
; WaveLimiterHint : 1
; COMPUTE_PGM_RSRC2:SCRATCH_EN: 0
; COMPUTE_PGM_RSRC2:USER_SGPR: 13
; COMPUTE_PGM_RSRC2:TRAP_HANDLER: 0
; COMPUTE_PGM_RSRC2:TGID_X_EN: 1
; COMPUTE_PGM_RSRC2:TGID_Y_EN: 1
; COMPUTE_PGM_RSRC2:TGID_Z_EN: 1
; COMPUTE_PGM_RSRC2:TIDIG_COMP_CNT: 0
	.section	.text._ZL16im2col_3d_kernelIfEvPKfPT_llllllllllllllllllllllllllllliiiiiiiii,"axG",@progbits,_ZL16im2col_3d_kernelIfEvPKfPT_llllllllllllllllllllllllllllliiiiiiiii,comdat
	.globl	_ZL16im2col_3d_kernelIfEvPKfPT_llllllllllllllllllllllllllllliiiiiiiii ; -- Begin function _ZL16im2col_3d_kernelIfEvPKfPT_llllllllllllllllllllllllllllliiiiiiiii
	.p2align	8
	.type	_ZL16im2col_3d_kernelIfEvPKfPT_llllllllllllllllllllllllllllliiiiiiiii,@function
_ZL16im2col_3d_kernelIfEvPKfPT_llllllllllllllllllllllllllllliiiiiiiii: ; @_ZL16im2col_3d_kernelIfEvPKfPT_llllllllllllllllllllllllllllliiiiiiiii
; %bb.0:
	s_clause 0x1
	s_load_b32 s2, s[0:1], 0x12c
	s_load_b64 s[34:35], s[0:1], 0xa0
	s_waitcnt lgkmcnt(0)
	s_and_b32 s2, s2, 0xffff
	s_delay_alu instid0(SALU_CYCLE_1) | instskip(SKIP_2) | instid1(VALU_DEP_1)
	v_mad_u64_u32 v[2:3], null, s13, s2, v[0:1]
	v_mov_b32_e32 v3, 0
	s_mov_b32 s2, exec_lo
	v_cmpx_gt_i64_e64 s[34:35], v[2:3]
	s_cbranch_execz .LBB3_37
; %bb.1:
	s_load_b64 s[4:5], s[0:1], 0x78
	s_mov_b32 s6, 0
	s_mov_b32 s12, s15
	s_waitcnt lgkmcnt(0)
	s_mov_b32 s7, s5
	s_delay_alu instid0(SALU_CYCLE_1)
	s_cmp_lg_u64 s[6:7], 0
	s_cbranch_scc0 .LBB3_38
; %bb.2:
	s_ashr_i32 s8, s5, 31
	s_delay_alu instid0(SALU_CYCLE_1) | instskip(SKIP_2) | instid1(SALU_CYCLE_1)
	s_add_u32 s2, s4, s8
	s_mov_b32 s9, s8
	s_addc_u32 s3, s5, s8
	s_xor_b64 s[10:11], s[2:3], s[8:9]
	s_delay_alu instid0(SALU_CYCLE_1) | instskip(SKIP_3) | instid1(VALU_DEP_1)
	v_cvt_f32_u32_e32 v0, s10
	v_cvt_f32_u32_e32 v1, s11
	s_sub_u32 s2, 0, s10
	s_subb_u32 s3, 0, s11
	v_fmamk_f32 v0, v1, 0x4f800000, v0
	s_delay_alu instid0(VALU_DEP_1) | instskip(SKIP_2) | instid1(VALU_DEP_1)
	v_rcp_f32_e32 v0, v0
	s_waitcnt_depctr 0xfff
	v_mul_f32_e32 v0, 0x5f7ffffc, v0
	v_mul_f32_e32 v1, 0x2f800000, v0
	s_delay_alu instid0(VALU_DEP_1) | instskip(NEXT) | instid1(VALU_DEP_1)
	v_trunc_f32_e32 v1, v1
	v_fmamk_f32 v0, v1, 0xcf800000, v0
	v_cvt_u32_f32_e32 v1, v1
	s_delay_alu instid0(VALU_DEP_2) | instskip(NEXT) | instid1(VALU_DEP_2)
	v_cvt_u32_f32_e32 v0, v0
	v_mul_lo_u32 v3, s2, v1
	s_delay_alu instid0(VALU_DEP_2) | instskip(SKIP_1) | instid1(VALU_DEP_2)
	v_mul_hi_u32 v4, s2, v0
	v_mul_lo_u32 v5, s3, v0
	v_add_nc_u32_e32 v3, v4, v3
	v_mul_lo_u32 v4, s2, v0
	s_delay_alu instid0(VALU_DEP_2) | instskip(NEXT) | instid1(VALU_DEP_2)
	v_add_nc_u32_e32 v3, v3, v5
	v_mul_hi_u32 v5, v0, v4
	s_delay_alu instid0(VALU_DEP_2)
	v_mul_lo_u32 v6, v0, v3
	v_mul_hi_u32 v7, v0, v3
	v_mul_hi_u32 v8, v1, v4
	v_mul_lo_u32 v4, v1, v4
	v_mul_hi_u32 v9, v1, v3
	v_mul_lo_u32 v3, v1, v3
	v_add_co_u32 v5, vcc_lo, v5, v6
	v_add_co_ci_u32_e32 v6, vcc_lo, 0, v7, vcc_lo
	s_delay_alu instid0(VALU_DEP_2) | instskip(NEXT) | instid1(VALU_DEP_2)
	v_add_co_u32 v4, vcc_lo, v5, v4
	v_add_co_ci_u32_e32 v4, vcc_lo, v6, v8, vcc_lo
	v_add_co_ci_u32_e32 v5, vcc_lo, 0, v9, vcc_lo
	s_delay_alu instid0(VALU_DEP_2) | instskip(NEXT) | instid1(VALU_DEP_2)
	v_add_co_u32 v3, vcc_lo, v4, v3
	v_add_co_ci_u32_e32 v4, vcc_lo, 0, v5, vcc_lo
	s_delay_alu instid0(VALU_DEP_2) | instskip(NEXT) | instid1(VALU_DEP_2)
	v_add_co_u32 v0, vcc_lo, v0, v3
	v_add_co_ci_u32_e32 v1, vcc_lo, v1, v4, vcc_lo
	s_delay_alu instid0(VALU_DEP_2) | instskip(SKIP_1) | instid1(VALU_DEP_3)
	v_mul_hi_u32 v3, s2, v0
	v_mul_lo_u32 v5, s3, v0
	v_mul_lo_u32 v4, s2, v1
	s_delay_alu instid0(VALU_DEP_1) | instskip(SKIP_1) | instid1(VALU_DEP_2)
	v_add_nc_u32_e32 v3, v3, v4
	v_mul_lo_u32 v4, s2, v0
	v_add_nc_u32_e32 v3, v3, v5
	s_delay_alu instid0(VALU_DEP_2) | instskip(NEXT) | instid1(VALU_DEP_2)
	v_mul_hi_u32 v5, v0, v4
	v_mul_lo_u32 v6, v0, v3
	v_mul_hi_u32 v7, v0, v3
	v_mul_hi_u32 v8, v1, v4
	v_mul_lo_u32 v4, v1, v4
	v_mul_hi_u32 v9, v1, v3
	v_mul_lo_u32 v3, v1, v3
	v_add_co_u32 v5, vcc_lo, v5, v6
	v_add_co_ci_u32_e32 v6, vcc_lo, 0, v7, vcc_lo
	s_delay_alu instid0(VALU_DEP_2) | instskip(NEXT) | instid1(VALU_DEP_2)
	v_add_co_u32 v4, vcc_lo, v5, v4
	v_add_co_ci_u32_e32 v4, vcc_lo, v6, v8, vcc_lo
	v_add_co_ci_u32_e32 v5, vcc_lo, 0, v9, vcc_lo
	s_delay_alu instid0(VALU_DEP_2) | instskip(NEXT) | instid1(VALU_DEP_2)
	v_add_co_u32 v3, vcc_lo, v4, v3
	v_add_co_ci_u32_e32 v4, vcc_lo, 0, v5, vcc_lo
	s_delay_alu instid0(VALU_DEP_2) | instskip(NEXT) | instid1(VALU_DEP_2)
	v_add_co_u32 v5, vcc_lo, v0, v3
	v_add_co_ci_u32_e32 v7, vcc_lo, v1, v4, vcc_lo
	s_delay_alu instid0(VALU_DEP_2) | instskip(SKIP_1) | instid1(VALU_DEP_3)
	v_mul_hi_u32 v8, v2, v5
	v_mad_u64_u32 v[3:4], null, 0, v5, 0
	v_mad_u64_u32 v[0:1], null, v2, v7, 0
	;; [unrolled: 1-line block ×3, first 2 shown]
	s_delay_alu instid0(VALU_DEP_2) | instskip(NEXT) | instid1(VALU_DEP_3)
	v_add_co_u32 v0, vcc_lo, v8, v0
	v_add_co_ci_u32_e32 v1, vcc_lo, 0, v1, vcc_lo
	s_delay_alu instid0(VALU_DEP_2) | instskip(NEXT) | instid1(VALU_DEP_2)
	v_add_co_u32 v0, vcc_lo, v0, v3
	v_add_co_ci_u32_e32 v0, vcc_lo, v1, v4, vcc_lo
	v_add_co_ci_u32_e32 v1, vcc_lo, 0, v6, vcc_lo
	s_delay_alu instid0(VALU_DEP_2) | instskip(NEXT) | instid1(VALU_DEP_2)
	v_add_co_u32 v3, vcc_lo, v0, v5
	v_add_co_ci_u32_e32 v4, vcc_lo, 0, v1, vcc_lo
	s_delay_alu instid0(VALU_DEP_2) | instskip(SKIP_1) | instid1(VALU_DEP_3)
	v_mul_lo_u32 v5, s11, v3
	v_mad_u64_u32 v[0:1], null, s10, v3, 0
	v_mul_lo_u32 v6, s10, v4
	s_delay_alu instid0(VALU_DEP_2) | instskip(NEXT) | instid1(VALU_DEP_2)
	v_sub_co_u32 v0, vcc_lo, v2, v0
	v_add3_u32 v1, v1, v6, v5
	s_delay_alu instid0(VALU_DEP_1) | instskip(NEXT) | instid1(VALU_DEP_1)
	v_sub_nc_u32_e32 v5, 0, v1
	v_subrev_co_ci_u32_e64 v5, s2, s11, v5, vcc_lo
	v_add_co_u32 v6, s2, v3, 2
	s_delay_alu instid0(VALU_DEP_1) | instskip(SKIP_3) | instid1(VALU_DEP_3)
	v_add_co_ci_u32_e64 v7, s2, 0, v4, s2
	v_sub_co_u32 v8, s2, v0, s10
	v_sub_co_ci_u32_e32 v1, vcc_lo, 0, v1, vcc_lo
	v_subrev_co_ci_u32_e64 v5, s2, 0, v5, s2
	v_cmp_le_u32_e32 vcc_lo, s10, v8
	s_delay_alu instid0(VALU_DEP_3) | instskip(SKIP_1) | instid1(VALU_DEP_4)
	v_cmp_eq_u32_e64 s2, s11, v1
	v_cndmask_b32_e64 v8, 0, -1, vcc_lo
	v_cmp_le_u32_e32 vcc_lo, s11, v5
	v_cndmask_b32_e64 v9, 0, -1, vcc_lo
	v_cmp_le_u32_e32 vcc_lo, s10, v0
	;; [unrolled: 2-line block ×3, first 2 shown]
	v_cndmask_b32_e64 v10, 0, -1, vcc_lo
	v_cmp_eq_u32_e32 vcc_lo, s11, v5
	s_delay_alu instid0(VALU_DEP_2) | instskip(SKIP_3) | instid1(VALU_DEP_3)
	v_cndmask_b32_e64 v0, v10, v0, s2
	v_cndmask_b32_e32 v5, v9, v8, vcc_lo
	v_add_co_u32 v8, vcc_lo, v3, 1
	v_add_co_ci_u32_e32 v9, vcc_lo, 0, v4, vcc_lo
	v_cmp_ne_u32_e32 vcc_lo, 0, v5
	s_delay_alu instid0(VALU_DEP_2) | instskip(NEXT) | instid1(VALU_DEP_4)
	v_cndmask_b32_e32 v1, v9, v7, vcc_lo
	v_cndmask_b32_e32 v5, v8, v6, vcc_lo
	v_cmp_ne_u32_e32 vcc_lo, 0, v0
	s_delay_alu instid0(VALU_DEP_3) | instskip(NEXT) | instid1(VALU_DEP_3)
	v_cndmask_b32_e32 v0, v4, v1, vcc_lo
	v_cndmask_b32_e32 v1, v3, v5, vcc_lo
	s_delay_alu instid0(VALU_DEP_2) | instskip(NEXT) | instid1(VALU_DEP_2)
	v_xor_b32_e32 v3, s8, v0
	v_xor_b32_e32 v1, s8, v1
	s_delay_alu instid0(VALU_DEP_1) | instskip(NEXT) | instid1(VALU_DEP_3)
	v_sub_co_u32 v0, vcc_lo, v1, s8
	v_subrev_co_ci_u32_e32 v1, vcc_lo, s8, v3, vcc_lo
	s_and_not1_b32 vcc_lo, exec_lo, s6
	s_cbranch_vccnz .LBB3_4
.LBB3_3:
	v_cvt_f32_u32_e32 v0, s4
	s_sub_i32 s2, 0, s4
	s_delay_alu instid0(VALU_DEP_1) | instskip(SKIP_2) | instid1(VALU_DEP_1)
	v_rcp_iflag_f32_e32 v0, v0
	s_waitcnt_depctr 0xfff
	v_mul_f32_e32 v0, 0x4f7ffffe, v0
	v_cvt_u32_f32_e32 v0, v0
	s_delay_alu instid0(VALU_DEP_1) | instskip(NEXT) | instid1(VALU_DEP_1)
	v_mul_lo_u32 v1, s2, v0
	v_mul_hi_u32 v1, v0, v1
	s_delay_alu instid0(VALU_DEP_1) | instskip(NEXT) | instid1(VALU_DEP_1)
	v_add_nc_u32_e32 v0, v0, v1
	v_mul_hi_u32 v0, v2, v0
	s_delay_alu instid0(VALU_DEP_1) | instskip(SKIP_1) | instid1(VALU_DEP_2)
	v_mul_lo_u32 v1, v0, s4
	v_add_nc_u32_e32 v3, 1, v0
	v_sub_nc_u32_e32 v1, v2, v1
	s_delay_alu instid0(VALU_DEP_1) | instskip(SKIP_1) | instid1(VALU_DEP_2)
	v_subrev_nc_u32_e32 v4, s4, v1
	v_cmp_le_u32_e32 vcc_lo, s4, v1
	v_dual_cndmask_b32 v1, v1, v4 :: v_dual_cndmask_b32 v0, v0, v3
	s_delay_alu instid0(VALU_DEP_1) | instskip(NEXT) | instid1(VALU_DEP_2)
	v_cmp_le_u32_e32 vcc_lo, s4, v1
	v_add_nc_u32_e32 v3, 1, v0
	s_delay_alu instid0(VALU_DEP_1)
	v_dual_mov_b32 v1, 0 :: v_dual_cndmask_b32 v0, v0, v3
.LBB3_4:
	s_load_b128 s[44:47], s[0:1], 0x60
	s_mov_b32 s15, 0
	s_waitcnt lgkmcnt(0)
	v_cmp_ge_i64_e64 s2, s[14:15], s[46:47]
	s_delay_alu instid0(VALU_DEP_1)
	s_and_b32 vcc_lo, exec_lo, s2
	s_cbranch_vccnz .LBB3_37
; %bb.5:
	s_load_b64 s[56:57], s[0:1], 0x50
	s_mov_b32 s2, s15
	s_waitcnt lgkmcnt(0)
	s_mov_b32 s3, s57
	s_delay_alu instid0(SALU_CYCLE_1)
	s_cmp_lg_u64 s[2:3], 0
	s_cbranch_scc0 .LBB3_39
; %bb.6:
	s_ashr_i32 s2, s57, 31
	s_delay_alu instid0(SALU_CYCLE_1) | instskip(SKIP_2) | instid1(SALU_CYCLE_1)
	s_add_u32 s6, s56, s2
	s_mov_b32 s3, s2
	s_addc_u32 s7, s57, s2
	s_xor_b64 s[6:7], s[6:7], s[2:3]
	s_delay_alu instid0(SALU_CYCLE_1) | instskip(SKIP_3) | instid1(VALU_DEP_1)
	v_cvt_f32_u32_e32 v3, s6
	v_cvt_f32_u32_e32 v4, s7
	s_sub_u32 s2, 0, s6
	s_subb_u32 s3, 0, s7
	v_fmamk_f32 v3, v4, 0x4f800000, v3
	s_delay_alu instid0(VALU_DEP_1) | instskip(SKIP_2) | instid1(VALU_DEP_1)
	v_rcp_f32_e32 v3, v3
	s_waitcnt_depctr 0xfff
	v_mul_f32_e32 v3, 0x5f7ffffc, v3
	v_mul_f32_e32 v4, 0x2f800000, v3
	s_delay_alu instid0(VALU_DEP_1) | instskip(NEXT) | instid1(VALU_DEP_1)
	v_trunc_f32_e32 v4, v4
	v_fmamk_f32 v3, v4, 0xcf800000, v3
	v_cvt_u32_f32_e32 v4, v4
	s_delay_alu instid0(VALU_DEP_2) | instskip(NEXT) | instid1(VALU_DEP_2)
	v_cvt_u32_f32_e32 v3, v3
	v_mul_lo_u32 v5, s2, v4
	s_delay_alu instid0(VALU_DEP_2) | instskip(SKIP_1) | instid1(VALU_DEP_2)
	v_mul_hi_u32 v6, s2, v3
	v_mul_lo_u32 v7, s3, v3
	v_add_nc_u32_e32 v5, v6, v5
	v_mul_lo_u32 v6, s2, v3
	s_delay_alu instid0(VALU_DEP_2) | instskip(NEXT) | instid1(VALU_DEP_2)
	v_add_nc_u32_e32 v5, v5, v7
	v_mul_hi_u32 v7, v3, v6
	s_delay_alu instid0(VALU_DEP_2)
	v_mul_lo_u32 v8, v3, v5
	v_mul_hi_u32 v9, v3, v5
	v_mul_hi_u32 v10, v4, v6
	v_mul_lo_u32 v6, v4, v6
	v_mul_hi_u32 v11, v4, v5
	v_mul_lo_u32 v5, v4, v5
	v_add_co_u32 v7, vcc_lo, v7, v8
	v_add_co_ci_u32_e32 v8, vcc_lo, 0, v9, vcc_lo
	s_delay_alu instid0(VALU_DEP_2) | instskip(NEXT) | instid1(VALU_DEP_2)
	v_add_co_u32 v6, vcc_lo, v7, v6
	v_add_co_ci_u32_e32 v6, vcc_lo, v8, v10, vcc_lo
	v_add_co_ci_u32_e32 v7, vcc_lo, 0, v11, vcc_lo
	s_delay_alu instid0(VALU_DEP_2) | instskip(NEXT) | instid1(VALU_DEP_2)
	v_add_co_u32 v5, vcc_lo, v6, v5
	v_add_co_ci_u32_e32 v6, vcc_lo, 0, v7, vcc_lo
	s_delay_alu instid0(VALU_DEP_2) | instskip(NEXT) | instid1(VALU_DEP_2)
	v_add_co_u32 v3, vcc_lo, v3, v5
	v_add_co_ci_u32_e32 v4, vcc_lo, v4, v6, vcc_lo
	s_delay_alu instid0(VALU_DEP_2) | instskip(SKIP_1) | instid1(VALU_DEP_3)
	v_mul_hi_u32 v5, s2, v3
	v_mul_lo_u32 v7, s3, v3
	v_mul_lo_u32 v6, s2, v4
	s_delay_alu instid0(VALU_DEP_1) | instskip(SKIP_1) | instid1(VALU_DEP_2)
	v_add_nc_u32_e32 v5, v5, v6
	v_mul_lo_u32 v6, s2, v3
	v_add_nc_u32_e32 v5, v5, v7
	s_delay_alu instid0(VALU_DEP_2) | instskip(NEXT) | instid1(VALU_DEP_2)
	v_mul_hi_u32 v7, v3, v6
	v_mul_lo_u32 v8, v3, v5
	v_mul_hi_u32 v9, v3, v5
	v_mul_hi_u32 v10, v4, v6
	v_mul_lo_u32 v6, v4, v6
	v_mul_hi_u32 v11, v4, v5
	v_mul_lo_u32 v5, v4, v5
	v_add_co_u32 v7, vcc_lo, v7, v8
	v_add_co_ci_u32_e32 v8, vcc_lo, 0, v9, vcc_lo
	s_delay_alu instid0(VALU_DEP_2) | instskip(NEXT) | instid1(VALU_DEP_2)
	v_add_co_u32 v6, vcc_lo, v7, v6
	v_add_co_ci_u32_e32 v6, vcc_lo, v8, v10, vcc_lo
	v_add_co_ci_u32_e32 v7, vcc_lo, 0, v11, vcc_lo
	s_delay_alu instid0(VALU_DEP_2) | instskip(NEXT) | instid1(VALU_DEP_2)
	v_add_co_u32 v5, vcc_lo, v6, v5
	v_add_co_ci_u32_e32 v6, vcc_lo, 0, v7, vcc_lo
	s_delay_alu instid0(VALU_DEP_2) | instskip(NEXT) | instid1(VALU_DEP_2)
	v_add_co_u32 v7, vcc_lo, v3, v5
	v_add_co_ci_u32_e32 v9, vcc_lo, v4, v6, vcc_lo
	s_delay_alu instid0(VALU_DEP_2) | instskip(SKIP_1) | instid1(VALU_DEP_3)
	v_mul_hi_u32 v10, v2, v7
	v_mad_u64_u32 v[5:6], null, 0, v7, 0
	v_mad_u64_u32 v[3:4], null, v2, v9, 0
	;; [unrolled: 1-line block ×3, first 2 shown]
	s_delay_alu instid0(VALU_DEP_2) | instskip(NEXT) | instid1(VALU_DEP_3)
	v_add_co_u32 v3, vcc_lo, v10, v3
	v_add_co_ci_u32_e32 v4, vcc_lo, 0, v4, vcc_lo
	s_delay_alu instid0(VALU_DEP_2) | instskip(NEXT) | instid1(VALU_DEP_2)
	v_add_co_u32 v3, vcc_lo, v3, v5
	v_add_co_ci_u32_e32 v3, vcc_lo, v4, v6, vcc_lo
	v_add_co_ci_u32_e32 v4, vcc_lo, 0, v8, vcc_lo
	s_delay_alu instid0(VALU_DEP_2) | instskip(NEXT) | instid1(VALU_DEP_2)
	v_add_co_u32 v5, vcc_lo, v3, v7
	v_add_co_ci_u32_e32 v6, vcc_lo, 0, v4, vcc_lo
	s_delay_alu instid0(VALU_DEP_2) | instskip(SKIP_1) | instid1(VALU_DEP_3)
	v_mul_lo_u32 v7, s7, v5
	v_mad_u64_u32 v[3:4], null, s6, v5, 0
	v_mul_lo_u32 v5, s6, v6
	s_delay_alu instid0(VALU_DEP_2) | instskip(NEXT) | instid1(VALU_DEP_2)
	v_sub_co_u32 v3, vcc_lo, v2, v3
	v_add3_u32 v4, v4, v5, v7
	s_delay_alu instid0(VALU_DEP_1) | instskip(NEXT) | instid1(VALU_DEP_1)
	v_sub_nc_u32_e32 v5, 0, v4
	v_subrev_co_ci_u32_e64 v5, s2, s7, v5, vcc_lo
	v_sub_co_ci_u32_e32 v4, vcc_lo, 0, v4, vcc_lo
	v_sub_co_u32 v6, vcc_lo, v3, s6
	s_delay_alu instid0(VALU_DEP_1) | instskip(SKIP_3) | instid1(VALU_DEP_3)
	v_subrev_co_ci_u32_e64 v7, s2, 0, v5, vcc_lo
	v_cmp_le_u32_e64 s2, s6, v3
	v_subrev_co_ci_u32_e32 v5, vcc_lo, s7, v5, vcc_lo
	v_cmp_le_u32_e32 vcc_lo, s7, v4
	v_cndmask_b32_e64 v8, 0, -1, s2
	v_cmp_le_u32_e64 s2, s6, v6
	v_cndmask_b32_e64 v11, 0, -1, vcc_lo
	v_cmp_eq_u32_e32 vcc_lo, s7, v7
	s_delay_alu instid0(VALU_DEP_3) | instskip(SKIP_1) | instid1(VALU_DEP_1)
	v_cndmask_b32_e64 v9, 0, -1, s2
	v_cmp_le_u32_e64 s2, s7, v7
	v_cndmask_b32_e64 v10, 0, -1, s2
	v_cmp_eq_u32_e64 s2, s7, v4
	s_delay_alu instid0(VALU_DEP_2) | instskip(SKIP_2) | instid1(VALU_DEP_3)
	v_cndmask_b32_e32 v9, v10, v9, vcc_lo
	v_sub_co_u32 v10, vcc_lo, v6, s6
	v_subrev_co_ci_u32_e32 v5, vcc_lo, 0, v5, vcc_lo
	v_cmp_ne_u32_e32 vcc_lo, 0, v9
	v_cndmask_b32_e64 v8, v11, v8, s2
	s_delay_alu instid0(VALU_DEP_3) | instskip(NEXT) | instid1(VALU_DEP_2)
	v_dual_cndmask_b32 v5, v7, v5 :: v_dual_cndmask_b32 v6, v6, v10
	v_cmp_ne_u32_e32 vcc_lo, 0, v8
	s_delay_alu instid0(VALU_DEP_2) | instskip(NEXT) | instid1(VALU_DEP_1)
	v_dual_cndmask_b32 v3, v3, v6 :: v_dual_cndmask_b32 v4, v4, v5
	v_sub_co_u32 v6, vcc_lo, v3, 0
	s_delay_alu instid0(VALU_DEP_2)
	v_subrev_co_ci_u32_e32 v7, vcc_lo, 0, v4, vcc_lo
	v_cvt_f32_u32_e32 v12, s56
	s_cbranch_execnz .LBB3_8
.LBB3_7:
	s_delay_alu instid0(VALU_DEP_1) | instskip(SKIP_4) | instid1(VALU_DEP_1)
	v_rcp_iflag_f32_e32 v3, v12
	s_sub_i32 s2, 0, s56
	v_mov_b32_e32 v7, 0
	s_waitcnt_depctr 0xfff
	v_mul_f32_e32 v3, 0x4f7ffffe, v3
	v_cvt_u32_f32_e32 v3, v3
	s_delay_alu instid0(VALU_DEP_1) | instskip(NEXT) | instid1(VALU_DEP_1)
	v_mul_lo_u32 v4, s2, v3
	v_mul_hi_u32 v4, v3, v4
	s_delay_alu instid0(VALU_DEP_1) | instskip(NEXT) | instid1(VALU_DEP_1)
	v_add_nc_u32_e32 v3, v3, v4
	v_mul_hi_u32 v3, v2, v3
	s_delay_alu instid0(VALU_DEP_1) | instskip(NEXT) | instid1(VALU_DEP_1)
	v_mul_lo_u32 v3, v3, s56
	v_sub_nc_u32_e32 v3, v2, v3
	s_delay_alu instid0(VALU_DEP_1) | instskip(SKIP_1) | instid1(VALU_DEP_2)
	v_subrev_nc_u32_e32 v4, s56, v3
	v_cmp_le_u32_e32 vcc_lo, s56, v3
	v_cndmask_b32_e32 v3, v3, v4, vcc_lo
	s_delay_alu instid0(VALU_DEP_1) | instskip(SKIP_1) | instid1(VALU_DEP_2)
	v_subrev_nc_u32_e32 v4, s56, v3
	v_cmp_le_u32_e32 vcc_lo, s56, v3
	v_cndmask_b32_e32 v6, v3, v4, vcc_lo
.LBB3_8:
	s_load_b64 s[6:7], s[0:1], 0x88
	v_mul_lo_u32 v3, v1, s4
	v_mul_lo_u32 v4, v0, s5
	v_mad_u64_u32 v[8:9], null, v0, s4, 0
	s_delay_alu instid0(VALU_DEP_1) | instskip(NEXT) | instid1(VALU_DEP_2)
	v_add3_u32 v9, v9, v4, v3
	v_sub_co_u32 v4, vcc_lo, v2, v8
	v_mov_b32_e32 v2, 0
	s_delay_alu instid0(VALU_DEP_3) | instskip(SKIP_1) | instid1(VALU_DEP_1)
	v_sub_co_ci_u32_e32 v5, vcc_lo, 0, v9, vcc_lo
	s_waitcnt lgkmcnt(0)
	v_or_b32_e32 v3, s7, v5
	s_delay_alu instid0(VALU_DEP_1) | instskip(SKIP_1) | instid1(SALU_CYCLE_1)
	v_cmp_ne_u64_e32 vcc_lo, 0, v[2:3]
                                        ; implicit-def: $vgpr2_vgpr3
	s_and_saveexec_b32 s2, vcc_lo
	s_xor_b32 s3, exec_lo, s2
	s_cbranch_execz .LBB3_10
; %bb.9:
	s_ashr_i32 s4, s7, 31
	s_delay_alu instid0(SALU_CYCLE_1) | instskip(SKIP_2) | instid1(SALU_CYCLE_1)
	s_add_u32 s8, s6, s4
	s_mov_b32 s5, s4
	s_addc_u32 s9, s7, s4
	s_xor_b64 s[8:9], s[8:9], s[4:5]
	s_delay_alu instid0(SALU_CYCLE_1) | instskip(SKIP_3) | instid1(VALU_DEP_1)
	v_cvt_f32_u32_e32 v2, s8
	v_cvt_f32_u32_e32 v3, s9
	s_sub_u32 s2, 0, s8
	s_subb_u32 s5, 0, s9
	v_fmamk_f32 v2, v3, 0x4f800000, v2
	s_delay_alu instid0(VALU_DEP_1) | instskip(SKIP_2) | instid1(VALU_DEP_1)
	v_rcp_f32_e32 v2, v2
	s_waitcnt_depctr 0xfff
	v_mul_f32_e32 v2, 0x5f7ffffc, v2
	v_mul_f32_e32 v3, 0x2f800000, v2
	s_delay_alu instid0(VALU_DEP_1) | instskip(NEXT) | instid1(VALU_DEP_1)
	v_trunc_f32_e32 v3, v3
	v_fmamk_f32 v2, v3, 0xcf800000, v2
	v_cvt_u32_f32_e32 v3, v3
	s_delay_alu instid0(VALU_DEP_2) | instskip(NEXT) | instid1(VALU_DEP_2)
	v_cvt_u32_f32_e32 v2, v2
	v_mul_lo_u32 v10, s2, v3
	s_delay_alu instid0(VALU_DEP_2) | instskip(SKIP_1) | instid1(VALU_DEP_2)
	v_mul_hi_u32 v11, s2, v2
	v_mul_lo_u32 v13, s5, v2
	v_add_nc_u32_e32 v10, v11, v10
	v_mul_lo_u32 v11, s2, v2
	s_delay_alu instid0(VALU_DEP_2) | instskip(NEXT) | instid1(VALU_DEP_2)
	v_add_nc_u32_e32 v10, v10, v13
	v_mul_hi_u32 v13, v2, v11
	s_delay_alu instid0(VALU_DEP_2)
	v_mul_lo_u32 v14, v2, v10
	v_mul_hi_u32 v15, v2, v10
	v_mul_hi_u32 v16, v3, v11
	v_mul_lo_u32 v11, v3, v11
	v_mul_hi_u32 v17, v3, v10
	v_mul_lo_u32 v10, v3, v10
	v_add_co_u32 v13, vcc_lo, v13, v14
	v_add_co_ci_u32_e32 v14, vcc_lo, 0, v15, vcc_lo
	s_delay_alu instid0(VALU_DEP_2) | instskip(NEXT) | instid1(VALU_DEP_2)
	v_add_co_u32 v11, vcc_lo, v13, v11
	v_add_co_ci_u32_e32 v11, vcc_lo, v14, v16, vcc_lo
	v_add_co_ci_u32_e32 v13, vcc_lo, 0, v17, vcc_lo
	v_ashrrev_i32_e32 v16, 31, v5
	s_delay_alu instid0(VALU_DEP_3) | instskip(NEXT) | instid1(VALU_DEP_3)
	v_add_co_u32 v10, vcc_lo, v11, v10
	v_add_co_ci_u32_e32 v11, vcc_lo, 0, v13, vcc_lo
	s_delay_alu instid0(VALU_DEP_2) | instskip(NEXT) | instid1(VALU_DEP_2)
	v_add_co_u32 v2, vcc_lo, v2, v10
	v_add_co_ci_u32_e32 v3, vcc_lo, v3, v11, vcc_lo
	s_delay_alu instid0(VALU_DEP_2) | instskip(SKIP_1) | instid1(VALU_DEP_3)
	v_mul_hi_u32 v10, s2, v2
	v_mul_lo_u32 v13, s5, v2
	v_mul_lo_u32 v11, s2, v3
	s_delay_alu instid0(VALU_DEP_1) | instskip(SKIP_1) | instid1(VALU_DEP_2)
	v_add_nc_u32_e32 v10, v10, v11
	v_mul_lo_u32 v11, s2, v2
	v_add_nc_u32_e32 v10, v10, v13
	s_delay_alu instid0(VALU_DEP_2) | instskip(NEXT) | instid1(VALU_DEP_2)
	v_mul_hi_u32 v13, v2, v11
	v_mul_lo_u32 v14, v2, v10
	v_mul_hi_u32 v15, v2, v10
	v_mul_hi_u32 v17, v3, v11
	v_mul_lo_u32 v11, v3, v11
	v_mul_hi_u32 v18, v3, v10
	v_mul_lo_u32 v10, v3, v10
	v_add_co_u32 v13, vcc_lo, v13, v14
	v_add_co_ci_u32_e32 v14, vcc_lo, 0, v15, vcc_lo
	s_delay_alu instid0(VALU_DEP_2) | instskip(NEXT) | instid1(VALU_DEP_2)
	v_add_co_u32 v11, vcc_lo, v13, v11
	v_add_co_ci_u32_e32 v11, vcc_lo, v14, v17, vcc_lo
	v_add_co_ci_u32_e32 v13, vcc_lo, 0, v18, vcc_lo
	v_add_co_u32 v14, vcc_lo, v4, v16
	v_add_co_ci_u32_e32 v15, vcc_lo, v5, v16, vcc_lo
	s_delay_alu instid0(VALU_DEP_4) | instskip(NEXT) | instid1(VALU_DEP_4)
	v_add_co_u32 v10, vcc_lo, v11, v10
	v_add_co_ci_u32_e32 v11, vcc_lo, 0, v13, vcc_lo
	s_delay_alu instid0(VALU_DEP_4) | instskip(NEXT) | instid1(VALU_DEP_3)
	v_xor_b32_e32 v17, v14, v16
	v_add_co_u32 v13, vcc_lo, v2, v10
	s_delay_alu instid0(VALU_DEP_3) | instskip(SKIP_1) | instid1(VALU_DEP_3)
	v_add_co_ci_u32_e32 v18, vcc_lo, v3, v11, vcc_lo
	v_xor_b32_e32 v15, v15, v16
	v_mul_hi_u32 v19, v17, v13
	s_delay_alu instid0(VALU_DEP_3) | instskip(NEXT) | instid1(VALU_DEP_3)
	v_mad_u64_u32 v[2:3], null, v17, v18, 0
	v_mad_u64_u32 v[10:11], null, v15, v13, 0
	;; [unrolled: 1-line block ×3, first 2 shown]
	s_delay_alu instid0(VALU_DEP_3) | instskip(NEXT) | instid1(VALU_DEP_4)
	v_add_co_u32 v2, vcc_lo, v19, v2
	v_add_co_ci_u32_e32 v3, vcc_lo, 0, v3, vcc_lo
	s_delay_alu instid0(VALU_DEP_2) | instskip(NEXT) | instid1(VALU_DEP_2)
	v_add_co_u32 v2, vcc_lo, v2, v10
	v_add_co_ci_u32_e32 v2, vcc_lo, v3, v11, vcc_lo
	v_add_co_ci_u32_e32 v3, vcc_lo, 0, v14, vcc_lo
	s_delay_alu instid0(VALU_DEP_2) | instskip(NEXT) | instid1(VALU_DEP_2)
	v_add_co_u32 v10, vcc_lo, v2, v13
	v_add_co_ci_u32_e32 v11, vcc_lo, 0, v3, vcc_lo
	s_delay_alu instid0(VALU_DEP_2) | instskip(SKIP_1) | instid1(VALU_DEP_3)
	v_mul_lo_u32 v13, s9, v10
	v_mad_u64_u32 v[2:3], null, s8, v10, 0
	v_mul_lo_u32 v14, s8, v11
	s_delay_alu instid0(VALU_DEP_2) | instskip(NEXT) | instid1(VALU_DEP_2)
	v_sub_co_u32 v2, vcc_lo, v17, v2
	v_add3_u32 v3, v3, v14, v13
	s_delay_alu instid0(VALU_DEP_1) | instskip(NEXT) | instid1(VALU_DEP_1)
	v_sub_nc_u32_e32 v13, v15, v3
	v_subrev_co_ci_u32_e64 v13, s2, s9, v13, vcc_lo
	v_add_co_u32 v14, s2, v10, 2
	s_delay_alu instid0(VALU_DEP_1) | instskip(SKIP_3) | instid1(VALU_DEP_3)
	v_add_co_ci_u32_e64 v17, s2, 0, v11, s2
	v_sub_co_u32 v18, s2, v2, s8
	v_sub_co_ci_u32_e32 v3, vcc_lo, v15, v3, vcc_lo
	v_subrev_co_ci_u32_e64 v13, s2, 0, v13, s2
	v_cmp_le_u32_e32 vcc_lo, s8, v18
	s_delay_alu instid0(VALU_DEP_3) | instskip(SKIP_1) | instid1(VALU_DEP_4)
	v_cmp_eq_u32_e64 s2, s9, v3
	v_cndmask_b32_e64 v15, 0, -1, vcc_lo
	v_cmp_le_u32_e32 vcc_lo, s9, v13
	v_cndmask_b32_e64 v18, 0, -1, vcc_lo
	v_cmp_le_u32_e32 vcc_lo, s8, v2
	;; [unrolled: 2-line block ×3, first 2 shown]
	v_cndmask_b32_e64 v19, 0, -1, vcc_lo
	v_cmp_eq_u32_e32 vcc_lo, s9, v13
	s_delay_alu instid0(VALU_DEP_2) | instskip(SKIP_3) | instid1(VALU_DEP_3)
	v_cndmask_b32_e64 v2, v19, v2, s2
	v_cndmask_b32_e32 v13, v18, v15, vcc_lo
	v_add_co_u32 v15, vcc_lo, v10, 1
	v_add_co_ci_u32_e32 v18, vcc_lo, 0, v11, vcc_lo
	v_cmp_ne_u32_e32 vcc_lo, 0, v13
	s_delay_alu instid0(VALU_DEP_3) | instskip(NEXT) | instid1(VALU_DEP_3)
	v_cndmask_b32_e32 v13, v15, v14, vcc_lo
	v_cndmask_b32_e32 v3, v18, v17, vcc_lo
	v_cmp_ne_u32_e32 vcc_lo, 0, v2
	v_xor_b32_e32 v14, s4, v16
	s_delay_alu instid0(VALU_DEP_3) | instskip(NEXT) | instid1(VALU_DEP_1)
	v_dual_cndmask_b32 v2, v11, v3 :: v_dual_cndmask_b32 v3, v10, v13
	v_xor_b32_e32 v10, v2, v14
	s_delay_alu instid0(VALU_DEP_2) | instskip(NEXT) | instid1(VALU_DEP_1)
	v_xor_b32_e32 v3, v3, v14
	v_sub_co_u32 v2, vcc_lo, v3, v14
	s_delay_alu instid0(VALU_DEP_3)
	v_sub_co_ci_u32_e32 v3, vcc_lo, v10, v14, vcc_lo
.LBB3_10:
	s_and_not1_saveexec_b32 s2, s3
	s_cbranch_execz .LBB3_12
; %bb.11:
	v_cvt_f32_u32_e32 v2, s6
	s_sub_i32 s3, 0, s6
	s_delay_alu instid0(VALU_DEP_1) | instskip(SKIP_2) | instid1(VALU_DEP_1)
	v_rcp_iflag_f32_e32 v2, v2
	s_waitcnt_depctr 0xfff
	v_mul_f32_e32 v2, 0x4f7ffffe, v2
	v_cvt_u32_f32_e32 v2, v2
	s_delay_alu instid0(VALU_DEP_1) | instskip(NEXT) | instid1(VALU_DEP_1)
	v_mul_lo_u32 v3, s3, v2
	v_mul_hi_u32 v3, v2, v3
	s_delay_alu instid0(VALU_DEP_1) | instskip(NEXT) | instid1(VALU_DEP_1)
	v_add_nc_u32_e32 v2, v2, v3
	v_mul_hi_u32 v2, v4, v2
	s_delay_alu instid0(VALU_DEP_1) | instskip(SKIP_1) | instid1(VALU_DEP_2)
	v_mul_lo_u32 v3, v2, s6
	v_add_nc_u32_e32 v10, 1, v2
	v_sub_nc_u32_e32 v3, v4, v3
	s_delay_alu instid0(VALU_DEP_1) | instskip(SKIP_1) | instid1(VALU_DEP_2)
	v_subrev_nc_u32_e32 v11, s6, v3
	v_cmp_le_u32_e32 vcc_lo, s6, v3
	v_dual_cndmask_b32 v3, v3, v11 :: v_dual_cndmask_b32 v2, v2, v10
	s_delay_alu instid0(VALU_DEP_1) | instskip(NEXT) | instid1(VALU_DEP_2)
	v_cmp_le_u32_e32 vcc_lo, s6, v3
	v_dual_mov_b32 v3, 0 :: v_dual_add_nc_u32 v10, 1, v2
	s_delay_alu instid0(VALU_DEP_1)
	v_cndmask_b32_e32 v2, v2, v10, vcc_lo
.LBB3_12:
	s_or_b32 exec_lo, exec_lo, s2
	s_delay_alu instid0(VALU_DEP_1) | instskip(NEXT) | instid1(VALU_DEP_2)
	v_mul_lo_u32 v13, v3, s6
	v_mul_lo_u32 v14, v2, s7
	v_mad_u64_u32 v[10:11], null, v2, s6, 0
	s_delay_alu instid0(VALU_DEP_1) | instskip(NEXT) | instid1(VALU_DEP_2)
	v_add3_u32 v11, v11, v14, v13
	v_sub_co_u32 v13, vcc_lo, v4, v10
	v_mov_b32_e32 v4, 0
	s_delay_alu instid0(VALU_DEP_3) | instskip(NEXT) | instid1(VALU_DEP_1)
	v_sub_co_ci_u32_e32 v14, vcc_lo, v5, v11, vcc_lo
	v_or_b32_e32 v5, s57, v14
	s_delay_alu instid0(VALU_DEP_1) | instskip(SKIP_1) | instid1(SALU_CYCLE_1)
	v_cmp_ne_u64_e32 vcc_lo, 0, v[4:5]
                                        ; implicit-def: $vgpr4_vgpr5
	s_and_saveexec_b32 s2, vcc_lo
	s_xor_b32 s3, exec_lo, s2
	s_cbranch_execz .LBB3_14
; %bb.13:
	s_ashr_i32 s4, s57, 31
	s_delay_alu instid0(SALU_CYCLE_1) | instskip(SKIP_2) | instid1(SALU_CYCLE_1)
	s_add_u32 s6, s56, s4
	s_mov_b32 s5, s4
	s_addc_u32 s7, s57, s4
	s_xor_b64 s[6:7], s[6:7], s[4:5]
	s_delay_alu instid0(SALU_CYCLE_1) | instskip(SKIP_3) | instid1(VALU_DEP_1)
	v_cvt_f32_u32_e32 v4, s6
	v_cvt_f32_u32_e32 v5, s7
	s_sub_u32 s2, 0, s6
	s_subb_u32 s5, 0, s7
	v_fmamk_f32 v4, v5, 0x4f800000, v4
	s_delay_alu instid0(VALU_DEP_1) | instskip(SKIP_2) | instid1(VALU_DEP_1)
	v_rcp_f32_e32 v4, v4
	s_waitcnt_depctr 0xfff
	v_mul_f32_e32 v4, 0x5f7ffffc, v4
	v_mul_f32_e32 v5, 0x2f800000, v4
	s_delay_alu instid0(VALU_DEP_1) | instskip(NEXT) | instid1(VALU_DEP_1)
	v_trunc_f32_e32 v5, v5
	v_fmamk_f32 v4, v5, 0xcf800000, v4
	v_cvt_u32_f32_e32 v5, v5
	s_delay_alu instid0(VALU_DEP_2) | instskip(NEXT) | instid1(VALU_DEP_2)
	v_cvt_u32_f32_e32 v4, v4
	v_mul_lo_u32 v12, s2, v5
	s_delay_alu instid0(VALU_DEP_2) | instskip(SKIP_1) | instid1(VALU_DEP_2)
	v_mul_hi_u32 v15, s2, v4
	v_mul_lo_u32 v16, s5, v4
	v_add_nc_u32_e32 v12, v15, v12
	v_mul_lo_u32 v15, s2, v4
	s_delay_alu instid0(VALU_DEP_2) | instskip(NEXT) | instid1(VALU_DEP_2)
	v_add_nc_u32_e32 v12, v12, v16
	v_mul_hi_u32 v16, v4, v15
	s_delay_alu instid0(VALU_DEP_2)
	v_mul_lo_u32 v17, v4, v12
	v_mul_hi_u32 v18, v4, v12
	v_mul_hi_u32 v19, v5, v15
	v_mul_lo_u32 v15, v5, v15
	v_mul_hi_u32 v20, v5, v12
	v_mul_lo_u32 v12, v5, v12
	v_add_co_u32 v16, vcc_lo, v16, v17
	v_add_co_ci_u32_e32 v17, vcc_lo, 0, v18, vcc_lo
	s_delay_alu instid0(VALU_DEP_2) | instskip(NEXT) | instid1(VALU_DEP_2)
	v_add_co_u32 v15, vcc_lo, v16, v15
	v_add_co_ci_u32_e32 v15, vcc_lo, v17, v19, vcc_lo
	v_add_co_ci_u32_e32 v16, vcc_lo, 0, v20, vcc_lo
	v_ashrrev_i32_e32 v19, 31, v14
	s_delay_alu instid0(VALU_DEP_3) | instskip(NEXT) | instid1(VALU_DEP_3)
	v_add_co_u32 v12, vcc_lo, v15, v12
	v_add_co_ci_u32_e32 v15, vcc_lo, 0, v16, vcc_lo
	s_delay_alu instid0(VALU_DEP_2) | instskip(NEXT) | instid1(VALU_DEP_2)
	v_add_co_u32 v4, vcc_lo, v4, v12
	v_add_co_ci_u32_e32 v5, vcc_lo, v5, v15, vcc_lo
	s_delay_alu instid0(VALU_DEP_2) | instskip(SKIP_1) | instid1(VALU_DEP_3)
	v_mul_hi_u32 v12, s2, v4
	v_mul_lo_u32 v16, s5, v4
	v_mul_lo_u32 v15, s2, v5
	s_delay_alu instid0(VALU_DEP_1) | instskip(SKIP_1) | instid1(VALU_DEP_2)
	v_add_nc_u32_e32 v12, v12, v15
	v_mul_lo_u32 v15, s2, v4
	v_add_nc_u32_e32 v12, v12, v16
	s_delay_alu instid0(VALU_DEP_2) | instskip(NEXT) | instid1(VALU_DEP_2)
	v_mul_hi_u32 v16, v4, v15
	v_mul_lo_u32 v17, v4, v12
	v_mul_hi_u32 v18, v4, v12
	v_mul_hi_u32 v20, v5, v15
	v_mul_lo_u32 v15, v5, v15
	v_mul_hi_u32 v21, v5, v12
	v_mul_lo_u32 v12, v5, v12
	v_add_co_u32 v16, vcc_lo, v16, v17
	v_add_co_ci_u32_e32 v17, vcc_lo, 0, v18, vcc_lo
	s_delay_alu instid0(VALU_DEP_2) | instskip(NEXT) | instid1(VALU_DEP_2)
	v_add_co_u32 v15, vcc_lo, v16, v15
	v_add_co_ci_u32_e32 v15, vcc_lo, v17, v20, vcc_lo
	v_add_co_ci_u32_e32 v16, vcc_lo, 0, v21, vcc_lo
	v_add_co_u32 v13, vcc_lo, v13, v19
	v_add_co_ci_u32_e32 v14, vcc_lo, v14, v19, vcc_lo
	s_delay_alu instid0(VALU_DEP_4) | instskip(NEXT) | instid1(VALU_DEP_4)
	v_add_co_u32 v12, vcc_lo, v15, v12
	v_add_co_ci_u32_e32 v15, vcc_lo, 0, v16, vcc_lo
	s_delay_alu instid0(VALU_DEP_4) | instskip(NEXT) | instid1(VALU_DEP_3)
	v_xor_b32_e32 v16, v13, v19
	v_add_co_u32 v17, vcc_lo, v4, v12
	s_delay_alu instid0(VALU_DEP_3) | instskip(SKIP_1) | instid1(VALU_DEP_3)
	v_add_co_ci_u32_e32 v18, vcc_lo, v5, v15, vcc_lo
	v_xor_b32_e32 v20, v14, v19
	v_mul_hi_u32 v21, v16, v17
	s_delay_alu instid0(VALU_DEP_3) | instskip(NEXT) | instid1(VALU_DEP_3)
	v_mad_u64_u32 v[4:5], null, v16, v18, 0
	v_mad_u64_u32 v[12:13], null, v20, v17, 0
	;; [unrolled: 1-line block ×3, first 2 shown]
	s_delay_alu instid0(VALU_DEP_3) | instskip(NEXT) | instid1(VALU_DEP_4)
	v_add_co_u32 v4, vcc_lo, v21, v4
	v_add_co_ci_u32_e32 v5, vcc_lo, 0, v5, vcc_lo
	s_delay_alu instid0(VALU_DEP_2) | instskip(NEXT) | instid1(VALU_DEP_2)
	v_add_co_u32 v4, vcc_lo, v4, v12
	v_add_co_ci_u32_e32 v4, vcc_lo, v5, v13, vcc_lo
	v_add_co_ci_u32_e32 v5, vcc_lo, 0, v15, vcc_lo
	s_delay_alu instid0(VALU_DEP_2) | instskip(NEXT) | instid1(VALU_DEP_2)
	v_add_co_u32 v12, vcc_lo, v4, v14
	v_add_co_ci_u32_e32 v13, vcc_lo, 0, v5, vcc_lo
	s_delay_alu instid0(VALU_DEP_2) | instskip(SKIP_1) | instid1(VALU_DEP_3)
	v_mul_lo_u32 v14, s7, v12
	v_mad_u64_u32 v[4:5], null, s6, v12, 0
	v_mul_lo_u32 v15, s6, v13
	s_delay_alu instid0(VALU_DEP_2) | instskip(NEXT) | instid1(VALU_DEP_2)
	v_sub_co_u32 v4, vcc_lo, v16, v4
	v_add3_u32 v5, v5, v15, v14
	s_delay_alu instid0(VALU_DEP_1) | instskip(NEXT) | instid1(VALU_DEP_1)
	v_sub_nc_u32_e32 v14, v20, v5
	v_subrev_co_ci_u32_e64 v14, s2, s7, v14, vcc_lo
	v_add_co_u32 v15, s2, v12, 2
	s_delay_alu instid0(VALU_DEP_1) | instskip(SKIP_3) | instid1(VALU_DEP_3)
	v_add_co_ci_u32_e64 v16, s2, 0, v13, s2
	v_sub_co_u32 v17, s2, v4, s6
	v_sub_co_ci_u32_e32 v5, vcc_lo, v20, v5, vcc_lo
	v_subrev_co_ci_u32_e64 v14, s2, 0, v14, s2
	v_cmp_le_u32_e32 vcc_lo, s6, v17
	s_delay_alu instid0(VALU_DEP_3) | instskip(SKIP_1) | instid1(VALU_DEP_4)
	v_cmp_eq_u32_e64 s2, s7, v5
	v_cndmask_b32_e64 v17, 0, -1, vcc_lo
	v_cmp_le_u32_e32 vcc_lo, s7, v14
	v_cndmask_b32_e64 v18, 0, -1, vcc_lo
	v_cmp_le_u32_e32 vcc_lo, s6, v4
	;; [unrolled: 2-line block ×3, first 2 shown]
	v_cndmask_b32_e64 v20, 0, -1, vcc_lo
	v_cmp_eq_u32_e32 vcc_lo, s7, v14
	s_delay_alu instid0(VALU_DEP_2) | instskip(SKIP_3) | instid1(VALU_DEP_3)
	v_cndmask_b32_e64 v4, v20, v4, s2
	v_cndmask_b32_e32 v14, v18, v17, vcc_lo
	v_add_co_u32 v17, vcc_lo, v12, 1
	v_add_co_ci_u32_e32 v18, vcc_lo, 0, v13, vcc_lo
	v_cmp_ne_u32_e32 vcc_lo, 0, v14
	s_delay_alu instid0(VALU_DEP_2) | instskip(SKIP_2) | instid1(VALU_DEP_3)
	v_dual_cndmask_b32 v5, v18, v16 :: v_dual_cndmask_b32 v14, v17, v15
	v_cmp_ne_u32_e32 vcc_lo, 0, v4
	v_xor_b32_e32 v15, s4, v19
	v_dual_cndmask_b32 v4, v13, v5 :: v_dual_cndmask_b32 v5, v12, v14
                                        ; implicit-def: $vgpr13
	s_delay_alu instid0(VALU_DEP_1) | instskip(NEXT) | instid1(VALU_DEP_2)
	v_xor_b32_e32 v12, v4, v15
	v_xor_b32_e32 v5, v5, v15
	s_delay_alu instid0(VALU_DEP_1) | instskip(NEXT) | instid1(VALU_DEP_3)
	v_sub_co_u32 v4, vcc_lo, v5, v15
	v_sub_co_ci_u32_e32 v5, vcc_lo, v12, v15, vcc_lo
                                        ; implicit-def: $vgpr12
.LBB3_14:
	s_and_not1_saveexec_b32 s2, s3
	s_cbranch_execz .LBB3_16
; %bb.15:
	v_rcp_iflag_f32_e32 v4, v12
	s_sub_i32 s3, 0, s56
	s_waitcnt_depctr 0xfff
	v_mul_f32_e32 v4, 0x4f7ffffe, v4
	s_delay_alu instid0(VALU_DEP_1) | instskip(NEXT) | instid1(VALU_DEP_1)
	v_cvt_u32_f32_e32 v4, v4
	v_mul_lo_u32 v5, s3, v4
	s_delay_alu instid0(VALU_DEP_1) | instskip(NEXT) | instid1(VALU_DEP_1)
	v_mul_hi_u32 v5, v4, v5
	v_add_nc_u32_e32 v4, v4, v5
	s_delay_alu instid0(VALU_DEP_1) | instskip(NEXT) | instid1(VALU_DEP_1)
	v_mul_hi_u32 v4, v13, v4
	v_mul_lo_u32 v5, v4, s56
	v_add_nc_u32_e32 v12, 1, v4
	s_delay_alu instid0(VALU_DEP_2) | instskip(NEXT) | instid1(VALU_DEP_1)
	v_sub_nc_u32_e32 v5, v13, v5
	v_subrev_nc_u32_e32 v13, s56, v5
	v_cmp_le_u32_e32 vcc_lo, s56, v5
	s_delay_alu instid0(VALU_DEP_2) | instskip(NEXT) | instid1(VALU_DEP_1)
	v_dual_cndmask_b32 v5, v5, v13 :: v_dual_cndmask_b32 v4, v4, v12
	v_cmp_le_u32_e32 vcc_lo, s56, v5
	s_delay_alu instid0(VALU_DEP_2) | instskip(NEXT) | instid1(VALU_DEP_1)
	v_dual_mov_b32 v5, 0 :: v_dual_add_nc_u32 v12, 1, v4
	v_cndmask_b32_e32 v4, v4, v12, vcc_lo
.LBB3_16:
	s_or_b32 exec_lo, exec_lo, s2
	s_clause 0x5
	s_load_b256 s[4:11], s[0:1], 0xf8
	s_load_b128 s[48:51], s[0:1], 0x0
	s_load_b256 s[36:43], s[0:1], 0x18
	s_load_b512 s[16:31], s[0:1], 0xb0
	s_load_b64 s[52:53], s[0:1], 0xf0
	s_load_b32 s0, s[0:1], 0x118
	v_mul_lo_u32 v18, v5, s56
	v_lshlrev_b64 v[10:11], 2, v[10:11]
	v_lshlrev_b64 v[8:9], 2, v[8:9]
	s_mov_b32 s54, 0
	s_delay_alu instid0(SALU_CYCLE_1)
	s_mov_b32 s13, s54
	s_waitcnt lgkmcnt(0)
	s_ashr_i32 s1, s10, 31
	s_ashr_i32 s3, s11, 31
	v_mul_lo_u32 v19, v7, s10
	v_mad_u64_u32 v[12:13], null, v6, s10, 0
	v_mul_lo_u32 v5, v5, s11
	v_mad_u64_u32 v[14:15], null, v4, s11, 0
	v_mul_lo_u32 v20, v6, s1
	v_mul_lo_u32 v21, v4, s3
	s_ashr_i32 s3, s0, 31
	v_mul_lo_u32 v22, v3, s0
	v_mad_u64_u32 v[16:17], null, v2, s0, 0
	v_mul_lo_u32 v23, v2, s3
	v_sub_co_u32 v2, vcc_lo, v12, s7
	v_add3_u32 v3, v13, v20, v19
	v_add3_u32 v5, v15, v21, v5
	v_mul_lo_u32 v15, v4, s57
	v_mad_u64_u32 v[12:13], null, v4, s56, 0
	s_ashr_i32 s2, s7, 31
	s_ashr_i32 s1, s8, 31
	v_subrev_co_ci_u32_e32 v3, vcc_lo, s2, v3, vcc_lo
	v_sub_co_u32 v4, vcc_lo, v14, s8
	s_delay_alu instid0(VALU_DEP_3)
	v_add3_u32 v13, v13, v15, v18
	v_subrev_co_ci_u32_e32 v5, vcc_lo, s1, v5, vcc_lo
	v_add_co_u32 v15, vcc_lo, s50, v10
	v_add3_u32 v14, v17, v23, v22
	v_add_co_ci_u32_e32 v17, vcc_lo, s51, v11, vcc_lo
	v_lshlrev_b64 v[10:11], 2, v[12:13]
	v_cvt_f32_u32_e32 v12, s24
	v_cvt_f32_u32_e32 v13, s44
	v_add_co_u32 v8, vcc_lo, v15, v8
	v_add_co_ci_u32_e32 v9, vcc_lo, v17, v9, vcc_lo
	s_delay_alu instid0(VALU_DEP_4) | instskip(NEXT) | instid1(VALU_DEP_3)
	v_rcp_iflag_f32_e32 v12, v12
	v_rcp_iflag_f32_e32 v13, v13
	s_delay_alu instid0(VALU_DEP_2) | instskip(NEXT) | instid1(VALU_DEP_2)
	v_add_co_u32 v10, vcc_lo, v8, v10
	v_add_co_ci_u32_e32 v11, vcc_lo, v9, v11, vcc_lo
	v_lshlrev_b64 v[8:9], 2, v[6:7]
	s_ashr_i32 s0, s9, 31
	v_sub_co_u32 v6, vcc_lo, v16, s9
	v_subrev_co_ci_u32_e32 v7, vcc_lo, s0, v14, vcc_lo
	s_delay_alu instid0(VALU_DEP_3) | instskip(NEXT) | instid1(TRANS32_DEP_2)
	v_add_co_u32 v20, vcc_lo, v10, v8
	v_mul_f32_e32 v8, 0x4f7ffffe, v12
	s_delay_alu instid0(TRANS32_DEP_1)
	v_mul_f32_e32 v10, 0x4f7ffffe, v13
	v_cmp_lt_i64_e64 s7, s[12:13], s[22:23]
	v_add_co_ci_u32_e32 v21, vcc_lo, v11, v9, vcc_lo
	v_mov_b32_e32 v9, 0
	v_cvt_u32_f32_e32 v22, v8
	v_cvt_u32_f32_e32 v23, v10
	s_ashr_i32 s33, s4, 31
	s_ashr_i32 s59, s5, 31
	;; [unrolled: 1-line block ×3, first 2 shown]
	s_sub_u32 s57, 0, s24
	s_mov_b32 s58, s4
	s_mov_b32 s60, s5
	s_subb_u32 s61, 0, s25
	s_branch .LBB3_18
.LBB3_17:                               ;   in Loop: Header=BB3_18 Depth=1
	s_add_u32 s14, s14, 0xffff
	s_addc_u32 s15, s15, 0
	s_delay_alu instid0(SALU_CYCLE_1) | instskip(NEXT) | instid1(VALU_DEP_1)
	v_cmp_ge_i64_e64 s0, s[14:15], s[46:47]
	s_and_b32 vcc_lo, exec_lo, s0
	s_cbranch_vccnz .LBB3_37
.LBB3_18:                               ; =>This Loop Header: Depth=1
                                        ;     Child Loop BB3_22 Depth 2
	s_and_not1_b32 vcc_lo, exec_lo, s7
	s_cbranch_vccnz .LBB3_17
; %bb.19:                               ;   in Loop: Header=BB3_18 Depth=1
	v_mad_u64_u32 v[10:11], null, s14, s58, v[2:3]
	s_mul_i32 s0, s15, s58
	s_mul_i32 s1, s14, s33
	;; [unrolled: 1-line block ×3, first 2 shown]
	s_mov_b64 s[4:5], s[12:13]
	s_delay_alu instid0(VALU_DEP_1) | instskip(NEXT) | instid1(VALU_DEP_2)
	v_add3_u32 v11, s1, s0, v11
	v_mul_lo_u32 v8, v10, s53
	v_mad_u64_u32 v[12:13], null, v10, s52, 0
	s_mul_i32 s0, s14, s35
	s_delay_alu instid0(VALU_DEP_3) | instskip(SKIP_1) | instid1(SALU_CYCLE_1)
	v_mul_lo_u32 v14, v11, s52
	s_mul_hi_u32 s1, s14, s34
	s_add_i32 s1, s1, s0
	s_mul_i32 s0, s14, s34
	s_add_i32 s1, s1, s2
	s_delay_alu instid0(SALU_CYCLE_1) | instskip(NEXT) | instid1(VALU_DEP_1)
	s_lshl_b64 s[2:3], s[0:1], 2
	v_add3_u32 v13, v13, v8, v14
	v_add_co_u32 v24, vcc_lo, v20, s2
	v_cmp_gt_i64_e64 s0, 0, v[10:11]
	v_cmp_gt_i64_e64 s1, s[42:43], v[10:11]
	s_delay_alu instid0(VALU_DEP_4)
	v_lshlrev_b64 v[10:11], 2, v[12:13]
	v_add_co_ci_u32_e32 v25, vcc_lo, s3, v21, vcc_lo
	s_branch .LBB3_22
.LBB3_20:                               ;   in Loop: Header=BB3_22 Depth=2
	s_or_b32 exec_lo, exec_lo, s2
.LBB3_21:                               ;   in Loop: Header=BB3_22 Depth=2
	s_delay_alu instid0(SALU_CYCLE_1)
	s_or_b32 exec_lo, exec_lo, s3
	v_mul_lo_u32 v16, v12, s19
	v_mul_hi_u32 v17, v12, s18
	v_mul_lo_u32 v18, v14, s21
	v_mul_hi_u32 v19, v14, s20
	v_mul_lo_u32 v13, v13, s18
	v_mul_lo_u32 v15, v15, s20
	;; [unrolled: 1-line block ×4, first 2 shown]
	s_mul_i32 s3, s8, s17
	v_add_nc_u32_e32 v16, v17, v16
	s_mul_hi_u32 s10, s8, s16
	v_add_nc_u32_e32 v17, v19, v18
	s_mul_i32 s9, s9, s16
	s_add_i32 s3, s10, s3
	v_add_nc_u32_e32 v13, v16, v13
	s_mul_i32 s2, s8, s16
	v_add_nc_u32_e32 v15, v17, v15
	s_add_i32 s3, s3, s9
	s_delay_alu instid0(VALU_DEP_2) | instskip(SKIP_1) | instid1(VALU_DEP_2)
	v_lshlrev_b64 v[12:13], 2, v[12:13]
	s_lshl_b64 s[2:3], s[2:3], 2
	v_lshlrev_b64 v[14:15], 2, v[14:15]
	s_add_u32 s4, s4, 0xffff
	s_addc_u32 s5, s5, 0
	s_delay_alu instid0(VALU_DEP_1) | instskip(NEXT) | instid1(VALU_DEP_2)
	v_add_co_u32 v12, vcc_lo, v14, v12
	v_add_co_ci_u32_e32 v13, vcc_lo, v15, v13, vcc_lo
	s_delay_alu instid0(VALU_DEP_2) | instskip(NEXT) | instid1(VALU_DEP_2)
	v_add_co_u32 v12, vcc_lo, v12, s2
	v_add_co_ci_u32_e32 v13, vcc_lo, s3, v13, vcc_lo
	v_cmp_ge_i64_e64 s2, s[4:5], s[22:23]
	s_delay_alu instid0(VALU_DEP_3) | instskip(NEXT) | instid1(VALU_DEP_3)
	v_add_co_u32 v12, vcc_lo, v12, v24
	v_add_co_ci_u32_e32 v13, vcc_lo, v13, v25, vcc_lo
	s_delay_alu instid0(VALU_DEP_3)
	s_and_b32 vcc_lo, exec_lo, s2
	s_waitcnt vmcnt(0)
	global_store_b32 v[12:13], v8, off
	s_cbranch_vccnz .LBB3_17
.LBB3_22:                               ;   Parent Loop BB3_18 Depth=1
                                        ; =>  This Inner Loop Header: Depth=2
	s_or_b64 s[2:3], s[4:5], s[24:25]
	s_delay_alu instid0(SALU_CYCLE_1) | instskip(NEXT) | instid1(SALU_CYCLE_1)
	s_mov_b32 s55, s3
	s_cmp_lg_u64 s[54:55], 0
	s_cbranch_scc0 .LBB3_34
; %bb.23:                               ;   in Loop: Header=BB3_22 Depth=2
	s_ashr_i32 s2, s25, 31
	s_delay_alu instid0(SALU_CYCLE_1) | instskip(SKIP_2) | instid1(SALU_CYCLE_1)
	s_add_u32 s8, s24, s2
	s_mov_b32 s3, s2
	s_addc_u32 s9, s25, s2
	s_xor_b64 s[8:9], s[8:9], s[2:3]
	s_delay_alu instid0(SALU_CYCLE_1) | instskip(SKIP_3) | instid1(VALU_DEP_1)
	v_cvt_f32_u32_e32 v8, s8
	v_cvt_f32_u32_e32 v12, s9
	s_sub_u32 s50, 0, s8
	s_subb_u32 s51, 0, s9
	v_fmac_f32_e32 v8, 0x4f800000, v12
	s_delay_alu instid0(VALU_DEP_1) | instskip(SKIP_2) | instid1(VALU_DEP_1)
	v_rcp_f32_e32 v8, v8
	s_waitcnt_depctr 0xfff
	v_mul_f32_e32 v8, 0x5f7ffffc, v8
	v_mul_f32_e32 v12, 0x2f800000, v8
	s_delay_alu instid0(VALU_DEP_1) | instskip(NEXT) | instid1(VALU_DEP_1)
	v_trunc_f32_e32 v12, v12
	v_fmac_f32_e32 v8, 0xcf800000, v12
	v_cvt_u32_f32_e32 v12, v12
	s_delay_alu instid0(VALU_DEP_2) | instskip(NEXT) | instid1(VALU_DEP_2)
	v_cvt_u32_f32_e32 v8, v8
	v_readfirstlane_b32 s10, v12
	s_delay_alu instid0(VALU_DEP_2) | instskip(NEXT) | instid1(VALU_DEP_2)
	v_readfirstlane_b32 s11, v8
	s_mul_i32 s55, s50, s10
	s_delay_alu instid0(VALU_DEP_1)
	s_mul_hi_u32 s63, s50, s11
	s_mul_i32 s62, s51, s11
	s_add_i32 s55, s63, s55
	s_mul_i32 s64, s50, s11
	s_add_i32 s55, s55, s62
	s_mul_hi_u32 s63, s11, s64
	s_mul_hi_u32 s65, s10, s64
	s_mul_i32 s62, s10, s64
	s_mul_hi_u32 s64, s11, s55
	s_mul_i32 s11, s11, s55
	s_mul_hi_u32 s66, s10, s55
	s_add_u32 s11, s63, s11
	s_addc_u32 s63, 0, s64
	s_add_u32 s11, s11, s62
	s_mul_i32 s55, s10, s55
	s_addc_u32 s11, s63, s65
	s_addc_u32 s62, s66, 0
	s_add_u32 s11, s11, s55
	s_addc_u32 s55, 0, s62
	v_add_co_u32 v8, s11, v8, s11
	s_delay_alu instid0(VALU_DEP_1) | instskip(SKIP_1) | instid1(VALU_DEP_1)
	s_cmp_lg_u32 s11, 0
	s_addc_u32 s10, s10, s55
	v_readfirstlane_b32 s11, v8
	s_mul_i32 s55, s50, s10
	s_delay_alu instid0(VALU_DEP_1)
	s_mul_hi_u32 s62, s50, s11
	s_mul_i32 s51, s51, s11
	s_add_i32 s55, s62, s55
	s_mul_i32 s50, s50, s11
	s_add_i32 s55, s55, s51
	s_mul_hi_u32 s62, s10, s50
	s_mul_i32 s63, s10, s50
	s_mul_hi_u32 s50, s11, s50
	s_mul_hi_u32 s64, s11, s55
	s_mul_i32 s11, s11, s55
	s_mul_hi_u32 s51, s10, s55
	s_add_u32 s11, s50, s11
	s_addc_u32 s50, 0, s64
	s_add_u32 s11, s11, s63
	s_mul_i32 s55, s10, s55
	s_addc_u32 s11, s50, s62
	s_addc_u32 s50, s51, 0
	s_add_u32 s11, s11, s55
	s_addc_u32 s50, 0, s50
	v_add_co_u32 v8, s11, v8, s11
	s_delay_alu instid0(VALU_DEP_1) | instskip(SKIP_2) | instid1(VALU_DEP_1)
	s_cmp_lg_u32 s11, 0
	s_addc_u32 s55, s10, s50
	s_ashr_i32 s10, s5, 31
	v_readfirstlane_b32 s62, v8
	s_add_u32 s50, s4, s10
	s_mov_b32 s11, s10
	s_addc_u32 s51, s5, s10
	s_delay_alu instid0(SALU_CYCLE_1) | instskip(NEXT) | instid1(SALU_CYCLE_1)
	s_xor_b64 s[50:51], s[50:51], s[10:11]
	s_mul_i32 s64, s50, s55
	s_mul_hi_u32 s65, s50, s62
	s_mul_hi_u32 s63, s50, s55
	;; [unrolled: 1-line block ×3, first 2 shown]
	s_mul_i32 s62, s51, s62
	s_add_u32 s64, s65, s64
	s_addc_u32 s63, 0, s63
	s_mul_hi_u32 s66, s51, s55
	s_add_u32 s62, s64, s62
	s_mul_i32 s55, s51, s55
	s_addc_u32 s62, s63, s67
	s_addc_u32 s63, s66, 0
	s_add_u32 s55, s62, s55
	s_addc_u32 s62, 0, s63
	s_mul_i32 s66, s8, s55
	s_mul_hi_u32 s63, s8, s55
	s_mul_i32 s65, s8, s62
	v_sub_co_u32 v8, s50, s50, s66
	s_mul_i32 s64, s9, s55
	s_add_i32 s63, s63, s65
	s_delay_alu instid0(SALU_CYCLE_1) | instskip(NEXT) | instid1(VALU_DEP_1)
	s_add_i32 s63, s63, s64
	v_sub_co_u32 v12, s65, v8, s8
	s_sub_i32 s64, s51, s63
	s_cmp_lg_u32 s50, 0
	s_subb_u32 s64, s64, s9
	s_cmp_lg_u32 s65, 0
	v_readfirstlane_b32 s65, v12
	s_subb_u32 s64, s64, 0
	s_delay_alu instid0(SALU_CYCLE_1) | instskip(SKIP_1) | instid1(VALU_DEP_1)
	s_cmp_ge_u32 s64, s9
	s_cselect_b32 s66, -1, 0
	s_cmp_ge_u32 s65, s8
	s_cselect_b32 s65, -1, 0
	s_cmp_eq_u32 s64, s9
	s_cselect_b32 s64, s65, s66
	s_add_u32 s65, s55, 1
	s_addc_u32 s66, s62, 0
	s_add_u32 s67, s55, 2
	s_addc_u32 s68, s62, 0
	s_cmp_lg_u32 s64, 0
	s_cselect_b32 s64, s67, s65
	s_cselect_b32 s65, s68, s66
	s_cmp_lg_u32 s50, 0
	v_readfirstlane_b32 s50, v8
	s_subb_u32 s51, s51, s63
	s_delay_alu instid0(SALU_CYCLE_1) | instskip(SKIP_1) | instid1(VALU_DEP_1)
	s_cmp_ge_u32 s51, s9
	s_cselect_b32 s63, -1, 0
	s_cmp_ge_u32 s50, s8
	s_cselect_b32 s8, -1, 0
	s_cmp_eq_u32 s51, s9
	s_cselect_b32 s8, s8, s63
	s_delay_alu instid0(SALU_CYCLE_1) | instskip(SKIP_3) | instid1(SALU_CYCLE_1)
	s_cmp_lg_u32 s8, 0
	s_cselect_b32 s9, s65, s62
	s_cselect_b32 s8, s64, s55
	s_xor_b64 s[10:11], s[10:11], s[2:3]
	s_xor_b64 s[8:9], s[8:9], s[10:11]
	s_delay_alu instid0(SALU_CYCLE_1)
	s_sub_u32 s8, s8, s10
	s_subb_u32 s9, s9, s11
	s_cbranch_execnz .LBB3_25
.LBB3_24:                               ;   in Loop: Header=BB3_22 Depth=2
	v_readfirstlane_b32 s2, v22
	s_sub_i32 s3, 0, s24
	s_delay_alu instid0(VALU_DEP_1) | instid1(SALU_CYCLE_1)
	s_mul_i32 s3, s3, s2
	s_delay_alu instid0(SALU_CYCLE_1) | instskip(NEXT) | instid1(SALU_CYCLE_1)
	s_mul_hi_u32 s3, s2, s3
	s_add_i32 s2, s2, s3
	s_delay_alu instid0(SALU_CYCLE_1) | instskip(NEXT) | instid1(SALU_CYCLE_1)
	s_mul_hi_u32 s2, s4, s2
	s_mul_i32 s3, s2, s24
	s_add_i32 s8, s2, 1
	s_sub_i32 s3, s4, s3
	s_delay_alu instid0(SALU_CYCLE_1)
	s_sub_i32 s9, s3, s24
	s_cmp_ge_u32 s3, s24
	s_cselect_b32 s2, s8, s2
	s_cselect_b32 s3, s9, s3
	s_add_i32 s8, s2, 1
	s_cmp_ge_u32 s3, s24
	s_mov_b32 s9, s54
	s_cselect_b32 s8, s8, s2
.LBB3_25:                               ;   in Loop: Header=BB3_22 Depth=2
	s_mul_i32 s2, s57, s9
	s_mul_hi_u32 s3, s57, s8
	s_mul_i32 s10, s57, s8
	s_add_i32 s2, s3, s2
	s_mul_i32 s3, s61, s8
	s_delay_alu instid0(SALU_CYCLE_1) | instskip(SKIP_2) | instid1(SALU_CYCLE_1)
	s_add_i32 s2, s2, s3
	s_add_u32 s10, s4, s10
	s_addc_u32 s11, s5, s2
	s_or_b64 s[2:3], s[10:11], s[44:45]
	s_delay_alu instid0(SALU_CYCLE_1) | instskip(NEXT) | instid1(SALU_CYCLE_1)
	s_mov_b32 s55, s3
	s_cmp_lg_u64 s[54:55], 0
	s_cbranch_scc0 .LBB3_35
; %bb.26:                               ;   in Loop: Header=BB3_22 Depth=2
	s_ashr_i32 s50, s45, 31
	s_delay_alu instid0(SALU_CYCLE_1) | instskip(SKIP_2) | instid1(SALU_CYCLE_1)
	s_add_u32 s2, s44, s50
	s_mov_b32 s51, s50
	s_addc_u32 s3, s45, s50
	s_xor_b64 s[2:3], s[2:3], s[50:51]
	s_delay_alu instid0(SALU_CYCLE_1) | instskip(SKIP_3) | instid1(VALU_DEP_1)
	v_cvt_f32_u32_e32 v8, s2
	v_cvt_f32_u32_e32 v12, s3
	s_sub_u32 s63, 0, s2
	s_subb_u32 s64, 0, s3
	v_fmac_f32_e32 v8, 0x4f800000, v12
	s_delay_alu instid0(VALU_DEP_1) | instskip(SKIP_2) | instid1(VALU_DEP_1)
	v_rcp_f32_e32 v8, v8
	s_waitcnt_depctr 0xfff
	v_mul_f32_e32 v8, 0x5f7ffffc, v8
	v_mul_f32_e32 v12, 0x2f800000, v8
	s_delay_alu instid0(VALU_DEP_1) | instskip(NEXT) | instid1(VALU_DEP_1)
	v_trunc_f32_e32 v12, v12
	v_fmac_f32_e32 v8, 0xcf800000, v12
	v_cvt_u32_f32_e32 v12, v12
	s_delay_alu instid0(VALU_DEP_2) | instskip(NEXT) | instid1(VALU_DEP_2)
	v_cvt_u32_f32_e32 v8, v8
	v_readfirstlane_b32 s55, v12
	s_delay_alu instid0(VALU_DEP_2) | instskip(NEXT) | instid1(VALU_DEP_2)
	v_readfirstlane_b32 s62, v8
	s_mul_i32 s65, s63, s55
	s_delay_alu instid0(VALU_DEP_1)
	s_mul_hi_u32 s67, s63, s62
	s_mul_i32 s66, s64, s62
	s_add_i32 s65, s67, s65
	s_mul_i32 s68, s63, s62
	s_add_i32 s65, s65, s66
	s_mul_hi_u32 s67, s62, s68
	s_mul_hi_u32 s69, s55, s68
	s_mul_i32 s66, s55, s68
	s_mul_hi_u32 s68, s62, s65
	s_mul_i32 s62, s62, s65
	s_mul_hi_u32 s70, s55, s65
	s_add_u32 s62, s67, s62
	s_addc_u32 s67, 0, s68
	s_add_u32 s62, s62, s66
	s_mul_i32 s65, s55, s65
	s_addc_u32 s62, s67, s69
	s_addc_u32 s66, s70, 0
	s_add_u32 s62, s62, s65
	s_addc_u32 s65, 0, s66
	v_add_co_u32 v8, s62, v8, s62
	s_delay_alu instid0(VALU_DEP_1) | instskip(SKIP_1) | instid1(VALU_DEP_1)
	s_cmp_lg_u32 s62, 0
	s_addc_u32 s55, s55, s65
	v_readfirstlane_b32 s62, v8
	s_mul_i32 s65, s63, s55
	s_delay_alu instid0(VALU_DEP_1)
	s_mul_hi_u32 s66, s63, s62
	s_mul_i32 s64, s64, s62
	s_add_i32 s65, s66, s65
	s_mul_i32 s63, s63, s62
	s_add_i32 s65, s65, s64
	s_mul_hi_u32 s66, s55, s63
	s_mul_i32 s67, s55, s63
	s_mul_hi_u32 s63, s62, s63
	s_mul_hi_u32 s68, s62, s65
	s_mul_i32 s62, s62, s65
	s_mul_hi_u32 s64, s55, s65
	s_add_u32 s62, s63, s62
	s_addc_u32 s63, 0, s68
	s_add_u32 s62, s62, s67
	s_mul_i32 s65, s55, s65
	s_addc_u32 s62, s63, s66
	s_addc_u32 s63, s64, 0
	s_add_u32 s62, s62, s65
	s_addc_u32 s63, 0, s63
	v_add_co_u32 v8, s62, v8, s62
	s_delay_alu instid0(VALU_DEP_1) | instskip(SKIP_2) | instid1(SALU_CYCLE_1)
	s_cmp_lg_u32 s62, 0
	s_addc_u32 s55, s55, s63
	s_ashr_i32 s62, s11, 31
	s_add_u32 s64, s10, s62
	s_addc_u32 s65, s11, s62
	v_readfirstlane_b32 s11, v8
	s_mov_b32 s63, s62
	s_delay_alu instid0(SALU_CYCLE_1) | instskip(NEXT) | instid1(SALU_CYCLE_1)
	s_xor_b64 s[64:65], s[64:65], s[62:63]
	s_mul_i32 s67, s64, s55
	s_delay_alu instid0(VALU_DEP_1)
	s_mul_hi_u32 s68, s64, s11
	s_mul_hi_u32 s66, s64, s55
	;; [unrolled: 1-line block ×3, first 2 shown]
	s_mul_i32 s11, s65, s11
	s_add_u32 s67, s68, s67
	s_addc_u32 s66, 0, s66
	s_mul_hi_u32 s69, s65, s55
	s_add_u32 s11, s67, s11
	s_mul_i32 s55, s65, s55
	s_addc_u32 s11, s66, s70
	s_addc_u32 s66, s69, 0
	s_add_u32 s11, s11, s55
	s_addc_u32 s55, 0, s66
	s_mul_i32 s69, s2, s11
	s_mul_hi_u32 s66, s2, s11
	s_mul_i32 s68, s2, s55
	v_sub_co_u32 v8, s64, s64, s69
	s_mul_i32 s67, s3, s11
	s_add_i32 s66, s66, s68
	s_delay_alu instid0(SALU_CYCLE_1) | instskip(NEXT) | instid1(VALU_DEP_1)
	s_add_i32 s66, s66, s67
	v_sub_co_u32 v12, s68, v8, s2
	s_sub_i32 s67, s65, s66
	s_cmp_lg_u32 s64, 0
	s_subb_u32 s67, s67, s3
	s_cmp_lg_u32 s68, 0
	v_cmp_le_u32_e32 vcc_lo, s2, v12
	s_subb_u32 s67, s67, 0
	s_delay_alu instid0(SALU_CYCLE_1)
	s_cmp_ge_u32 s67, s3
	v_cndmask_b32_e64 v12, 0, -1, vcc_lo
	s_cselect_b32 s68, -1, 0
	s_cmp_eq_u32 s67, s3
	s_cselect_b32 vcc_lo, -1, 0
	s_add_u32 s67, s11, 1
	v_cndmask_b32_e32 v12, s68, v12, vcc_lo
	s_addc_u32 s68, s55, 0
	s_add_u32 s69, s11, 2
	s_addc_u32 s70, s55, 0
	v_mov_b32_e32 v13, s69
	s_cmp_lg_u32 s64, 0
	v_cmp_le_u32_e32 vcc_lo, s2, v8
	s_subb_u32 s2, s65, s66
	s_delay_alu instid0(SALU_CYCLE_1)
	s_cmp_ge_u32 s2, s3
	v_cndmask_b32_e64 v8, 0, -1, vcc_lo
	s_cselect_b32 s64, -1, 0
	s_cmp_eq_u32 s2, s3
	v_cmp_ne_u32_e32 vcc_lo, 0, v12
	s_cselect_b32 s2, -1, 0
	v_mov_b32_e32 v12, s70
	v_cndmask_b32_e64 v8, s64, v8, s2
	s_xor_b64 s[2:3], s[62:63], s[50:51]
	v_cndmask_b32_e32 v13, s67, v13, vcc_lo
	s_delay_alu instid0(VALU_DEP_3) | instskip(NEXT) | instid1(VALU_DEP_3)
	v_cndmask_b32_e32 v12, s68, v12, vcc_lo
	v_cmp_ne_u32_e32 vcc_lo, 0, v8
	s_delay_alu instid0(VALU_DEP_2) | instskip(NEXT) | instid1(VALU_DEP_4)
	v_cndmask_b32_e32 v8, s55, v12, vcc_lo
	v_cndmask_b32_e32 v12, s11, v13, vcc_lo
	s_delay_alu instid0(VALU_DEP_2) | instskip(NEXT) | instid1(VALU_DEP_2)
	v_xor_b32_e32 v8, s3, v8
	v_xor_b32_e32 v12, s2, v12
	s_delay_alu instid0(VALU_DEP_1) | instskip(NEXT) | instid1(VALU_DEP_3)
	v_sub_co_u32 v12, vcc_lo, v12, s2
	v_subrev_co_ci_u32_e32 v13, vcc_lo, s3, v8, vcc_lo
	s_cbranch_execnz .LBB3_28
.LBB3_27:                               ;   in Loop: Header=BB3_22 Depth=2
	s_sub_i32 s2, 0, s44
	s_delay_alu instid0(SALU_CYCLE_1) | instskip(NEXT) | instid1(VALU_DEP_1)
	v_mul_lo_u32 v8, s2, v23
	v_mul_hi_u32 v8, v23, v8
	s_delay_alu instid0(VALU_DEP_1) | instskip(NEXT) | instid1(VALU_DEP_1)
	v_add_nc_u32_e32 v8, v23, v8
	v_mul_hi_u32 v8, s10, v8
	s_delay_alu instid0(VALU_DEP_1) | instskip(NEXT) | instid1(VALU_DEP_1)
	v_mul_lo_u32 v12, v8, s44
	v_sub_nc_u32_e32 v12, s10, v12
	s_delay_alu instid0(VALU_DEP_1) | instskip(SKIP_1) | instid1(VALU_DEP_2)
	v_subrev_nc_u32_e32 v14, s44, v12
	v_cmp_le_u32_e32 vcc_lo, s44, v12
	v_dual_cndmask_b32 v12, v12, v14 :: v_dual_add_nc_u32 v13, 1, v8
	s_delay_alu instid0(VALU_DEP_1) | instskip(NEXT) | instid1(VALU_DEP_2)
	v_cndmask_b32_e32 v8, v8, v13, vcc_lo
	v_cmp_le_u32_e32 vcc_lo, s44, v12
	s_delay_alu instid0(VALU_DEP_2) | instskip(NEXT) | instid1(VALU_DEP_1)
	v_add_nc_u32_e32 v13, 1, v8
	v_cndmask_b32_e32 v8, v8, v13, vcc_lo
	s_delay_alu instid0(VALU_DEP_1)
	v_dual_mov_b32 v13, v9 :: v_dual_mov_b32 v12, v8
.LBB3_28:                               ;   in Loop: Header=BB3_22 Depth=2
	s_or_b64 s[2:3], s[4:5], s[44:45]
	s_delay_alu instid0(SALU_CYCLE_1) | instskip(NEXT) | instid1(SALU_CYCLE_1)
	s_mov_b32 s55, s3
	s_cmp_lg_u64 s[54:55], 0
	s_cbranch_scc0 .LBB3_36
; %bb.29:                               ;   in Loop: Header=BB3_22 Depth=2
	s_ashr_i32 s2, s45, 31
	s_delay_alu instid0(SALU_CYCLE_1) | instskip(SKIP_2) | instid1(SALU_CYCLE_1)
	s_add_u32 s10, s44, s2
	s_mov_b32 s3, s2
	s_addc_u32 s11, s45, s2
	s_xor_b64 s[2:3], s[10:11], s[2:3]
	s_delay_alu instid0(SALU_CYCLE_1) | instskip(SKIP_3) | instid1(VALU_DEP_1)
	v_cvt_f32_u32_e32 v8, s2
	v_cvt_f32_u32_e32 v14, s3
	s_sub_u32 s50, 0, s2
	s_subb_u32 s51, 0, s3
	v_fmac_f32_e32 v8, 0x4f800000, v14
	s_delay_alu instid0(VALU_DEP_1) | instskip(SKIP_2) | instid1(VALU_DEP_1)
	v_rcp_f32_e32 v8, v8
	s_waitcnt_depctr 0xfff
	v_mul_f32_e32 v8, 0x5f7ffffc, v8
	v_mul_f32_e32 v14, 0x2f800000, v8
	s_delay_alu instid0(VALU_DEP_1) | instskip(NEXT) | instid1(VALU_DEP_1)
	v_trunc_f32_e32 v14, v14
	v_fmac_f32_e32 v8, 0xcf800000, v14
	v_cvt_u32_f32_e32 v14, v14
	s_delay_alu instid0(VALU_DEP_2) | instskip(NEXT) | instid1(VALU_DEP_2)
	v_cvt_u32_f32_e32 v8, v8
	v_readfirstlane_b32 s10, v14
	s_delay_alu instid0(VALU_DEP_2) | instskip(NEXT) | instid1(VALU_DEP_2)
	v_readfirstlane_b32 s11, v8
	s_mul_i32 s55, s50, s10
	s_delay_alu instid0(VALU_DEP_1)
	s_mul_hi_u32 s63, s50, s11
	s_mul_i32 s62, s51, s11
	s_add_i32 s55, s63, s55
	s_mul_i32 s64, s50, s11
	s_add_i32 s55, s55, s62
	s_mul_hi_u32 s63, s11, s64
	s_mul_hi_u32 s65, s10, s64
	s_mul_i32 s62, s10, s64
	s_mul_hi_u32 s64, s11, s55
	s_mul_i32 s11, s11, s55
	s_mul_hi_u32 s66, s10, s55
	s_add_u32 s11, s63, s11
	s_addc_u32 s63, 0, s64
	s_add_u32 s11, s11, s62
	s_mul_i32 s55, s10, s55
	s_addc_u32 s11, s63, s65
	s_addc_u32 s62, s66, 0
	s_add_u32 s11, s11, s55
	s_addc_u32 s55, 0, s62
	v_add_co_u32 v8, s11, v8, s11
	s_delay_alu instid0(VALU_DEP_1) | instskip(SKIP_1) | instid1(VALU_DEP_1)
	s_cmp_lg_u32 s11, 0
	s_addc_u32 s10, s10, s55
	v_readfirstlane_b32 s11, v8
	s_mul_i32 s55, s50, s10
	s_delay_alu instid0(VALU_DEP_1)
	s_mul_hi_u32 s62, s50, s11
	s_mul_i32 s51, s51, s11
	s_add_i32 s55, s62, s55
	s_mul_i32 s50, s50, s11
	s_add_i32 s55, s55, s51
	s_mul_hi_u32 s62, s10, s50
	s_mul_i32 s63, s10, s50
	s_mul_hi_u32 s50, s11, s50
	s_mul_hi_u32 s64, s11, s55
	s_mul_i32 s11, s11, s55
	s_mul_hi_u32 s51, s10, s55
	s_add_u32 s11, s50, s11
	s_addc_u32 s50, 0, s64
	s_add_u32 s11, s11, s63
	s_mul_i32 s55, s10, s55
	s_addc_u32 s11, s50, s62
	s_addc_u32 s50, s51, 0
	s_add_u32 s11, s11, s55
	s_addc_u32 s50, 0, s50
	v_add_co_u32 v8, s11, v8, s11
	s_delay_alu instid0(VALU_DEP_1) | instskip(SKIP_2) | instid1(VALU_DEP_1)
	s_cmp_lg_u32 s11, 0
	s_addc_u32 s55, s10, s50
	s_ashr_i32 s10, s5, 31
	v_readfirstlane_b32 s62, v8
	s_add_u32 s50, s4, s10
	s_mov_b32 s11, s10
	s_addc_u32 s51, s5, s10
	s_delay_alu instid0(SALU_CYCLE_1) | instskip(NEXT) | instid1(SALU_CYCLE_1)
	s_xor_b64 s[50:51], s[50:51], s[10:11]
	s_mul_i32 s63, s50, s55
	s_mul_hi_u32 s64, s50, s62
	s_mul_hi_u32 s11, s50, s55
	;; [unrolled: 1-line block ×3, first 2 shown]
	s_mul_i32 s62, s51, s62
	s_add_u32 s63, s64, s63
	s_addc_u32 s11, 0, s11
	s_mul_hi_u32 s65, s51, s55
	s_add_u32 s62, s63, s62
	s_mul_i32 s55, s51, s55
	s_addc_u32 s11, s11, s66
	s_addc_u32 s62, s65, 0
	s_add_u32 s11, s11, s55
	s_addc_u32 s55, 0, s62
	s_mul_hi_u32 s62, s2, s11
	s_mul_i32 s55, s2, s55
	s_mul_i32 s63, s3, s11
	;; [unrolled: 1-line block ×3, first 2 shown]
	s_add_i32 s55, s62, s55
	v_sub_co_u32 v8, s11, s50, s11
	s_add_i32 s55, s55, s63
	s_delay_alu instid0(SALU_CYCLE_1) | instskip(SKIP_1) | instid1(VALU_DEP_1)
	s_sub_i32 s50, s51, s55
	s_cmp_lg_u32 s11, 0
	v_sub_co_u32 v14, s62, v8, s2
	s_subb_u32 s50, s50, s3
	s_cmp_lg_u32 s62, 0
	s_subb_u32 s63, s50, 0
	s_delay_alu instid0(VALU_DEP_1)
	v_cmp_le_u32_e32 vcc_lo, s2, v14
	s_cmp_ge_u32 s63, s3
	s_cselect_b32 s64, -1, 0
	s_cmp_eq_u32 s63, s3
	v_cndmask_b32_e64 v15, 0, -1, vcc_lo
	s_cselect_b32 vcc_lo, -1, 0
	s_cmp_lg_u32 s62, 0
	v_sub_co_u32 v16, s62, v14, s2
	s_subb_u32 s50, s50, s3
	s_cmp_lg_u32 s62, 0
	v_cndmask_b32_e32 v15, s64, v15, vcc_lo
	s_subb_u32 s50, s50, 0
	s_cmp_lg_u32 s11, 0
	v_cmp_le_u32_e32 vcc_lo, s2, v8
	s_subb_u32 s11, s51, s55
	s_delay_alu instid0(SALU_CYCLE_1)
	s_cmp_ge_u32 s11, s3
	v_cndmask_b32_e64 v17, 0, -1, vcc_lo
	s_cselect_b32 s51, -1, 0
	s_cmp_eq_u32 s11, s3
	v_cmp_ne_u32_e32 vcc_lo, 0, v15
	v_mov_b32_e32 v15, s50
	s_cselect_b32 s2, -1, 0
	s_delay_alu instid0(SALU_CYCLE_1) | instskip(SKIP_1) | instid1(VALU_DEP_3)
	v_cndmask_b32_e64 v17, s51, v17, s2
	v_cndmask_b32_e32 v14, v14, v16, vcc_lo
	v_cndmask_b32_e32 v15, s63, v15, vcc_lo
	s_delay_alu instid0(VALU_DEP_3) | instskip(NEXT) | instid1(VALU_DEP_3)
	v_cmp_ne_u32_e32 vcc_lo, 0, v17
	v_cndmask_b32_e32 v8, v8, v14, vcc_lo
	s_delay_alu instid0(VALU_DEP_3) | instskip(NEXT) | instid1(VALU_DEP_2)
	v_cndmask_b32_e32 v15, s11, v15, vcc_lo
	v_xor_b32_e32 v8, s10, v8
	s_delay_alu instid0(VALU_DEP_2) | instskip(NEXT) | instid1(VALU_DEP_2)
	v_xor_b32_e32 v15, s10, v15
	v_sub_co_u32 v14, vcc_lo, v8, s10
	s_delay_alu instid0(VALU_DEP_2)
	v_subrev_co_ci_u32_e32 v15, vcc_lo, s10, v15, vcc_lo
	s_cbranch_execnz .LBB3_31
.LBB3_30:                               ;   in Loop: Header=BB3_22 Depth=2
	s_sub_i32 s2, 0, s44
	s_delay_alu instid0(SALU_CYCLE_1) | instskip(NEXT) | instid1(VALU_DEP_1)
	v_mul_lo_u32 v8, s2, v23
	v_mul_hi_u32 v8, v23, v8
	s_delay_alu instid0(VALU_DEP_1) | instskip(NEXT) | instid1(VALU_DEP_1)
	v_add_nc_u32_e32 v8, v23, v8
	v_mul_hi_u32 v8, s4, v8
	s_delay_alu instid0(VALU_DEP_1) | instskip(NEXT) | instid1(VALU_DEP_1)
	v_mul_lo_u32 v8, v8, s44
	v_sub_nc_u32_e32 v8, s4, v8
	s_delay_alu instid0(VALU_DEP_1) | instskip(SKIP_1) | instid1(VALU_DEP_2)
	v_subrev_nc_u32_e32 v14, s44, v8
	v_cmp_le_u32_e32 vcc_lo, s44, v8
	v_cndmask_b32_e32 v8, v8, v14, vcc_lo
	s_delay_alu instid0(VALU_DEP_1) | instskip(SKIP_1) | instid1(VALU_DEP_2)
	v_subrev_nc_u32_e32 v14, s44, v8
	v_cmp_le_u32_e32 vcc_lo, s44, v8
	v_cndmask_b32_e32 v8, v8, v14, vcc_lo
	s_delay_alu instid0(VALU_DEP_1)
	v_dual_mov_b32 v15, v9 :: v_dual_mov_b32 v14, v8
.LBB3_31:                               ;   in Loop: Header=BB3_22 Depth=2
	s_delay_alu instid0(VALU_DEP_1) | instskip(NEXT) | instid1(VALU_DEP_2)
	v_mad_u64_u32 v[16:17], null, v14, s60, v[4:5]
	v_mul_lo_u32 v8, v15, s60
	v_mul_lo_u32 v18, v14, s59
	s_delay_alu instid0(VALU_DEP_1) | instskip(SKIP_1) | instid1(VALU_DEP_2)
	v_add3_u32 v17, v18, v8, v17
	v_mov_b32_e32 v8, 0
	v_cmp_gt_i64_e32 vcc_lo, 0, v[16:17]
	v_cmp_le_i64_e64 s2, s[40:41], v[16:17]
	s_delay_alu instid0(VALU_DEP_1) | instskip(NEXT) | instid1(SALU_CYCLE_1)
	s_or_b32 s2, vcc_lo, s2
	s_or_b32 s2, s2, s0
	s_delay_alu instid0(SALU_CYCLE_1) | instskip(NEXT) | instid1(SALU_CYCLE_1)
	s_xor_b32 s2, s2, -1
	s_and_saveexec_b32 s3, s2
	s_cbranch_execz .LBB3_21
; %bb.32:                               ;   in Loop: Header=BB3_22 Depth=2
	v_mad_u64_u32 v[18:19], null, v12, s6, v[6:7]
	v_mul_lo_u32 v8, v13, s6
	v_mul_lo_u32 v26, v12, s56
	s_delay_alu instid0(VALU_DEP_1) | instskip(SKIP_1) | instid1(VALU_DEP_2)
	v_add3_u32 v19, v26, v8, v19
	v_mov_b32_e32 v8, 0
	v_cmp_lt_i64_e32 vcc_lo, -1, v[18:19]
	v_cmp_gt_i64_e64 s2, s[38:39], v[18:19]
	s_delay_alu instid0(VALU_DEP_1) | instskip(NEXT) | instid1(SALU_CYCLE_1)
	s_and_b32 s2, vcc_lo, s2
	s_and_b32 s10, s1, s2
	s_delay_alu instid0(SALU_CYCLE_1)
	s_and_saveexec_b32 s2, s10
	s_cbranch_execz .LBB3_20
; %bb.33:                               ;   in Loop: Header=BB3_22 Depth=2
	v_mad_u64_u32 v[26:27], null, s8, s36, v[0:1]
	s_mul_i32 s10, s9, s36
	s_mul_i32 s11, s8, s37
	v_mul_lo_u32 v19, v19, s28
	v_mad_u64_u32 v[29:30], null, v18, s28, 0
	v_mul_lo_u32 v32, v17, s30
	s_delay_alu instid0(VALU_DEP_4) | instskip(SKIP_3) | instid1(VALU_DEP_4)
	v_add3_u32 v8, s11, s10, v27
	v_mul_lo_u32 v31, v26, s27
	v_mad_u64_u32 v[27:28], null, v26, s26, 0
	v_mul_lo_u32 v26, v18, s29
	v_mul_lo_u32 v8, v8, s26
	;; [unrolled: 1-line block ×3, first 2 shown]
	v_mad_u64_u32 v[17:18], null, v16, s30, 0
	s_delay_alu instid0(VALU_DEP_4) | instskip(NEXT) | instid1(VALU_DEP_4)
	v_add3_u32 v30, v30, v26, v19
	v_add3_u32 v28, v28, v31, v8
	s_delay_alu instid0(VALU_DEP_3) | instskip(NEXT) | instid1(VALU_DEP_2)
	v_add3_u32 v18, v18, v33, v32
	v_lshlrev_b64 v[26:27], 2, v[27:28]
	s_delay_alu instid0(VALU_DEP_4) | instskip(NEXT) | instid1(VALU_DEP_3)
	v_lshlrev_b64 v[28:29], 2, v[29:30]
	v_lshlrev_b64 v[16:17], 2, v[17:18]
	s_delay_alu instid0(VALU_DEP_3) | instskip(NEXT) | instid1(VALU_DEP_4)
	v_add_co_u32 v8, vcc_lo, s48, v26
	v_add_co_ci_u32_e32 v19, vcc_lo, s49, v27, vcc_lo
	s_delay_alu instid0(VALU_DEP_2) | instskip(NEXT) | instid1(VALU_DEP_2)
	v_add_co_u32 v8, vcc_lo, v8, v28
	v_add_co_ci_u32_e32 v18, vcc_lo, v19, v29, vcc_lo
	s_delay_alu instid0(VALU_DEP_2) | instskip(NEXT) | instid1(VALU_DEP_2)
	;; [unrolled: 3-line block ×3, first 2 shown]
	v_add_co_u32 v16, vcc_lo, v8, v10
	v_add_co_ci_u32_e32 v17, vcc_lo, v17, v11, vcc_lo
	global_load_b32 v8, v[16:17], off
	s_branch .LBB3_20
.LBB3_34:                               ;   in Loop: Header=BB3_22 Depth=2
                                        ; implicit-def: $sgpr8_sgpr9
	s_branch .LBB3_24
.LBB3_35:                               ;   in Loop: Header=BB3_22 Depth=2
                                        ; implicit-def: $vgpr12_vgpr13
	s_branch .LBB3_27
.LBB3_36:                               ;   in Loop: Header=BB3_22 Depth=2
                                        ; implicit-def: $vgpr14_vgpr15
	s_branch .LBB3_30
.LBB3_37:
	s_nop 0
	s_sendmsg sendmsg(MSG_DEALLOC_VGPRS)
	s_endpgm
.LBB3_38:
                                        ; implicit-def: $vgpr0_vgpr1
	s_branch .LBB3_3
.LBB3_39:
                                        ; implicit-def: $vgpr6_vgpr7
	v_cvt_f32_u32_e32 v12, s56
	s_branch .LBB3_7
	.section	.rodata,"a",@progbits
	.p2align	6, 0x0
	.amdhsa_kernel _ZL16im2col_3d_kernelIfEvPKfPT_llllllllllllllllllllllllllllliiiiiiiii
		.amdhsa_group_segment_fixed_size 0
		.amdhsa_private_segment_fixed_size 0
		.amdhsa_kernarg_size 544
		.amdhsa_user_sgpr_count 13
		.amdhsa_user_sgpr_dispatch_ptr 0
		.amdhsa_user_sgpr_queue_ptr 0
		.amdhsa_user_sgpr_kernarg_segment_ptr 1
		.amdhsa_user_sgpr_dispatch_id 0
		.amdhsa_user_sgpr_private_segment_size 0
		.amdhsa_wavefront_size32 1
		.amdhsa_uses_dynamic_stack 0
		.amdhsa_enable_private_segment 0
		.amdhsa_system_sgpr_workgroup_id_x 1
		.amdhsa_system_sgpr_workgroup_id_y 1
		.amdhsa_system_sgpr_workgroup_id_z 1
		.amdhsa_system_sgpr_workgroup_info 0
		.amdhsa_system_vgpr_workitem_id 0
		.amdhsa_next_free_vgpr 34
		.amdhsa_next_free_sgpr 71
		.amdhsa_reserve_vcc 1
		.amdhsa_float_round_mode_32 0
		.amdhsa_float_round_mode_16_64 0
		.amdhsa_float_denorm_mode_32 3
		.amdhsa_float_denorm_mode_16_64 3
		.amdhsa_dx10_clamp 1
		.amdhsa_ieee_mode 1
		.amdhsa_fp16_overflow 0
		.amdhsa_workgroup_processor_mode 1
		.amdhsa_memory_ordered 1
		.amdhsa_forward_progress 0
		.amdhsa_shared_vgpr_count 0
		.amdhsa_exception_fp_ieee_invalid_op 0
		.amdhsa_exception_fp_denorm_src 0
		.amdhsa_exception_fp_ieee_div_zero 0
		.amdhsa_exception_fp_ieee_overflow 0
		.amdhsa_exception_fp_ieee_underflow 0
		.amdhsa_exception_fp_ieee_inexact 0
		.amdhsa_exception_int_div_zero 0
	.end_amdhsa_kernel
	.section	.text._ZL16im2col_3d_kernelIfEvPKfPT_llllllllllllllllllllllllllllliiiiiiiii,"axG",@progbits,_ZL16im2col_3d_kernelIfEvPKfPT_llllllllllllllllllllllllllllliiiiiiiii,comdat
.Lfunc_end3:
	.size	_ZL16im2col_3d_kernelIfEvPKfPT_llllllllllllllllllllllllllllliiiiiiiii, .Lfunc_end3-_ZL16im2col_3d_kernelIfEvPKfPT_llllllllllllllllllllllllllllliiiiiiiii
                                        ; -- End function
	.section	.AMDGPU.csdata,"",@progbits
; Kernel info:
; codeLenInByte = 7740
; NumSgprs: 73
; NumVgprs: 34
; ScratchSize: 0
; MemoryBound: 0
; FloatMode: 240
; IeeeMode: 1
; LDSByteSize: 0 bytes/workgroup (compile time only)
; SGPRBlocks: 9
; VGPRBlocks: 4
; NumSGPRsForWavesPerEU: 73
; NumVGPRsForWavesPerEU: 34
; Occupancy: 16
; WaveLimiterHint : 1
; COMPUTE_PGM_RSRC2:SCRATCH_EN: 0
; COMPUTE_PGM_RSRC2:USER_SGPR: 13
; COMPUTE_PGM_RSRC2:TRAP_HANDLER: 0
; COMPUTE_PGM_RSRC2:TGID_X_EN: 1
; COMPUTE_PGM_RSRC2:TGID_Y_EN: 1
; COMPUTE_PGM_RSRC2:TGID_Z_EN: 1
; COMPUTE_PGM_RSRC2:TIDIG_COMP_CNT: 0
	.text
	.p2alignl 7, 3214868480
	.fill 96, 4, 3214868480
	.type	__hip_cuid_aa2bbe847425a34f,@object ; @__hip_cuid_aa2bbe847425a34f
	.section	.bss,"aw",@nobits
	.globl	__hip_cuid_aa2bbe847425a34f
__hip_cuid_aa2bbe847425a34f:
	.byte	0                               ; 0x0
	.size	__hip_cuid_aa2bbe847425a34f, 1

	.ident	"AMD clang version 19.0.0git (https://github.com/RadeonOpenCompute/llvm-project roc-6.4.0 25133 c7fe45cf4b819c5991fe208aaa96edf142730f1d)"
	.section	".note.GNU-stack","",@progbits
	.addrsig
	.addrsig_sym __hip_cuid_aa2bbe847425a34f
	.amdgpu_metadata
---
amdhsa.kernels:
  - .args:
      - .address_space:  global
        .offset:         0
        .size:           8
        .value_kind:     global_buffer
      - .address_space:  global
        .offset:         8
        .size:           8
        .value_kind:     global_buffer
      - .offset:         16
        .size:           8
        .value_kind:     by_value
      - .offset:         24
        .size:           8
        .value_kind:     by_value
      - .offset:         32
        .size:           8
        .value_kind:     by_value
      - .offset:         40
        .size:           8
        .value_kind:     by_value
      - .offset:         48
        .size:           8
        .value_kind:     by_value
      - .offset:         56
        .size:           8
        .value_kind:     by_value
      - .offset:         64
        .size:           8
        .value_kind:     by_value
      - .offset:         72
        .size:           8
        .value_kind:     by_value
      - .offset:         80
        .size:           8
        .value_kind:     by_value
      - .offset:         88
        .size:           8
        .value_kind:     by_value
      - .offset:         96
        .size:           8
        .value_kind:     by_value
      - .offset:         104
        .size:           8
        .value_kind:     by_value
      - .offset:         112
        .size:           4
        .value_kind:     by_value
      - .offset:         116
        .size:           4
        .value_kind:     by_value
      - .offset:         120
        .size:           4
        .value_kind:     by_value
      - .offset:         124
        .size:           4
        .value_kind:     by_value
      - .offset:         128
        .size:           4
        .value_kind:     by_value
      - .offset:         132
        .size:           4
        .value_kind:     by_value
      - .offset:         136
        .size:           4
        .value_kind:     hidden_block_count_x
      - .offset:         140
        .size:           4
        .value_kind:     hidden_block_count_y
      - .offset:         144
        .size:           4
        .value_kind:     hidden_block_count_z
      - .offset:         148
        .size:           2
        .value_kind:     hidden_group_size_x
      - .offset:         150
        .size:           2
        .value_kind:     hidden_group_size_y
      - .offset:         152
        .size:           2
        .value_kind:     hidden_group_size_z
      - .offset:         154
        .size:           2
        .value_kind:     hidden_remainder_x
      - .offset:         156
        .size:           2
        .value_kind:     hidden_remainder_y
      - .offset:         158
        .size:           2
        .value_kind:     hidden_remainder_z
      - .offset:         176
        .size:           8
        .value_kind:     hidden_global_offset_x
      - .offset:         184
        .size:           8
        .value_kind:     hidden_global_offset_y
      - .offset:         192
        .size:           8
        .value_kind:     hidden_global_offset_z
      - .offset:         200
        .size:           2
        .value_kind:     hidden_grid_dims
    .group_segment_fixed_size: 0
    .kernarg_segment_align: 8
    .kernarg_segment_size: 392
    .language:       OpenCL C
    .language_version:
      - 2
      - 0
    .max_flat_workgroup_size: 1024
    .name:           _ZL13im2col_kernelI6__halfEvPKfPT_lllllllllllliiiiii
    .private_segment_fixed_size: 0
    .sgpr_count:     50
    .sgpr_spill_count: 0
    .symbol:         _ZL13im2col_kernelI6__halfEvPKfPT_lllllllllllliiiiii.kd
    .uniform_work_group_size: 1
    .uses_dynamic_stack: false
    .vgpr_count:     18
    .vgpr_spill_count: 0
    .wavefront_size: 32
    .workgroup_processor_mode: 1
  - .args:
      - .address_space:  global
        .offset:         0
        .size:           8
        .value_kind:     global_buffer
      - .address_space:  global
        .offset:         8
        .size:           8
        .value_kind:     global_buffer
      - .offset:         16
        .size:           8
        .value_kind:     by_value
      - .offset:         24
        .size:           8
        .value_kind:     by_value
      - .offset:         32
        .size:           8
        .value_kind:     by_value
      - .offset:         40
        .size:           8
        .value_kind:     by_value
      - .offset:         48
        .size:           8
        .value_kind:     by_value
      - .offset:         56
        .size:           8
        .value_kind:     by_value
      - .offset:         64
        .size:           8
        .value_kind:     by_value
      - .offset:         72
        .size:           8
        .value_kind:     by_value
      - .offset:         80
        .size:           8
        .value_kind:     by_value
      - .offset:         88
        .size:           8
        .value_kind:     by_value
      - .offset:         96
        .size:           8
        .value_kind:     by_value
      - .offset:         104
        .size:           8
        .value_kind:     by_value
      - .offset:         112
        .size:           4
        .value_kind:     by_value
      - .offset:         116
        .size:           4
        .value_kind:     by_value
      - .offset:         120
        .size:           4
        .value_kind:     by_value
      - .offset:         124
        .size:           4
        .value_kind:     by_value
      - .offset:         128
        .size:           4
        .value_kind:     by_value
      - .offset:         132
        .size:           4
        .value_kind:     by_value
      - .offset:         136
        .size:           4
        .value_kind:     hidden_block_count_x
      - .offset:         140
        .size:           4
        .value_kind:     hidden_block_count_y
      - .offset:         144
        .size:           4
        .value_kind:     hidden_block_count_z
      - .offset:         148
        .size:           2
        .value_kind:     hidden_group_size_x
      - .offset:         150
        .size:           2
        .value_kind:     hidden_group_size_y
      - .offset:         152
        .size:           2
        .value_kind:     hidden_group_size_z
      - .offset:         154
        .size:           2
        .value_kind:     hidden_remainder_x
      - .offset:         156
        .size:           2
        .value_kind:     hidden_remainder_y
      - .offset:         158
        .size:           2
        .value_kind:     hidden_remainder_z
      - .offset:         176
        .size:           8
        .value_kind:     hidden_global_offset_x
      - .offset:         184
        .size:           8
        .value_kind:     hidden_global_offset_y
      - .offset:         192
        .size:           8
        .value_kind:     hidden_global_offset_z
      - .offset:         200
        .size:           2
        .value_kind:     hidden_grid_dims
    .group_segment_fixed_size: 0
    .kernarg_segment_align: 8
    .kernarg_segment_size: 392
    .language:       OpenCL C
    .language_version:
      - 2
      - 0
    .max_flat_workgroup_size: 1024
    .name:           _ZL13im2col_kernelIfEvPKfPT_lllllllllllliiiiii
    .private_segment_fixed_size: 0
    .sgpr_count:     50
    .sgpr_spill_count: 0
    .symbol:         _ZL13im2col_kernelIfEvPKfPT_lllllllllllliiiiii.kd
    .uniform_work_group_size: 1
    .uses_dynamic_stack: false
    .vgpr_count:     18
    .vgpr_spill_count: 0
    .wavefront_size: 32
    .workgroup_processor_mode: 1
  - .args:
      - .address_space:  global
        .offset:         0
        .size:           8
        .value_kind:     global_buffer
      - .address_space:  global
        .offset:         8
        .size:           8
        .value_kind:     global_buffer
      - .offset:         16
        .size:           8
        .value_kind:     by_value
      - .offset:         24
        .size:           8
        .value_kind:     by_value
      - .offset:         32
        .size:           8
        .value_kind:     by_value
      - .offset:         40
        .size:           8
        .value_kind:     by_value
      - .offset:         48
        .size:           8
        .value_kind:     by_value
      - .offset:         56
        .size:           8
        .value_kind:     by_value
      - .offset:         64
        .size:           8
        .value_kind:     by_value
      - .offset:         72
        .size:           8
        .value_kind:     by_value
      - .offset:         80
        .size:           8
        .value_kind:     by_value
      - .offset:         88
        .size:           8
        .value_kind:     by_value
      - .offset:         96
        .size:           8
        .value_kind:     by_value
      - .offset:         104
        .size:           8
        .value_kind:     by_value
      - .offset:         112
        .size:           8
        .value_kind:     by_value
      - .offset:         120
        .size:           8
        .value_kind:     by_value
      - .offset:         128
        .size:           8
        .value_kind:     by_value
      - .offset:         136
        .size:           8
        .value_kind:     by_value
      - .offset:         144
        .size:           8
        .value_kind:     by_value
      - .offset:         152
        .size:           8
        .value_kind:     by_value
      - .offset:         160
        .size:           8
        .value_kind:     by_value
      - .offset:         168
        .size:           8
        .value_kind:     by_value
      - .offset:         176
        .size:           8
        .value_kind:     by_value
      - .offset:         184
        .size:           8
        .value_kind:     by_value
      - .offset:         192
        .size:           8
        .value_kind:     by_value
      - .offset:         200
        .size:           8
        .value_kind:     by_value
      - .offset:         208
        .size:           8
        .value_kind:     by_value
      - .offset:         216
        .size:           8
        .value_kind:     by_value
      - .offset:         224
        .size:           8
        .value_kind:     by_value
      - .offset:         232
        .size:           8
        .value_kind:     by_value
      - .offset:         240
        .size:           8
        .value_kind:     by_value
      - .offset:         248
        .size:           4
        .value_kind:     by_value
      - .offset:         252
        .size:           4
        .value_kind:     by_value
      - .offset:         256
        .size:           4
        .value_kind:     by_value
      - .offset:         260
        .size:           4
        .value_kind:     by_value
      - .offset:         264
        .size:           4
        .value_kind:     by_value
      - .offset:         268
        .size:           4
        .value_kind:     by_value
      - .offset:         272
        .size:           4
        .value_kind:     by_value
      - .offset:         276
        .size:           4
        .value_kind:     by_value
      - .offset:         280
        .size:           4
        .value_kind:     by_value
      - .offset:         288
        .size:           4
        .value_kind:     hidden_block_count_x
      - .offset:         292
        .size:           4
        .value_kind:     hidden_block_count_y
      - .offset:         296
        .size:           4
        .value_kind:     hidden_block_count_z
      - .offset:         300
        .size:           2
        .value_kind:     hidden_group_size_x
      - .offset:         302
        .size:           2
        .value_kind:     hidden_group_size_y
      - .offset:         304
        .size:           2
        .value_kind:     hidden_group_size_z
      - .offset:         306
        .size:           2
        .value_kind:     hidden_remainder_x
      - .offset:         308
        .size:           2
        .value_kind:     hidden_remainder_y
      - .offset:         310
        .size:           2
        .value_kind:     hidden_remainder_z
      - .offset:         328
        .size:           8
        .value_kind:     hidden_global_offset_x
      - .offset:         336
        .size:           8
        .value_kind:     hidden_global_offset_y
      - .offset:         344
        .size:           8
        .value_kind:     hidden_global_offset_z
      - .offset:         352
        .size:           2
        .value_kind:     hidden_grid_dims
    .group_segment_fixed_size: 0
    .kernarg_segment_align: 8
    .kernarg_segment_size: 544
    .language:       OpenCL C
    .language_version:
      - 2
      - 0
    .max_flat_workgroup_size: 1024
    .name:           _ZL16im2col_3d_kernelI6__halfEvPKfPT_llllllllllllllllllllllllllllliiiiiiiii
    .private_segment_fixed_size: 0
    .sgpr_count:     75
    .sgpr_spill_count: 0
    .symbol:         _ZL16im2col_3d_kernelI6__halfEvPKfPT_llllllllllllllllllllllllllllliiiiiiiii.kd
    .uniform_work_group_size: 1
    .uses_dynamic_stack: false
    .vgpr_count:     32
    .vgpr_spill_count: 0
    .wavefront_size: 32
    .workgroup_processor_mode: 1
  - .args:
      - .address_space:  global
        .offset:         0
        .size:           8
        .value_kind:     global_buffer
      - .address_space:  global
        .offset:         8
        .size:           8
        .value_kind:     global_buffer
      - .offset:         16
        .size:           8
        .value_kind:     by_value
      - .offset:         24
        .size:           8
        .value_kind:     by_value
      - .offset:         32
        .size:           8
        .value_kind:     by_value
      - .offset:         40
        .size:           8
        .value_kind:     by_value
      - .offset:         48
        .size:           8
        .value_kind:     by_value
      - .offset:         56
        .size:           8
        .value_kind:     by_value
      - .offset:         64
        .size:           8
        .value_kind:     by_value
      - .offset:         72
        .size:           8
        .value_kind:     by_value
      - .offset:         80
        .size:           8
        .value_kind:     by_value
      - .offset:         88
        .size:           8
        .value_kind:     by_value
      - .offset:         96
        .size:           8
        .value_kind:     by_value
      - .offset:         104
        .size:           8
        .value_kind:     by_value
      - .offset:         112
        .size:           8
        .value_kind:     by_value
      - .offset:         120
        .size:           8
        .value_kind:     by_value
      - .offset:         128
        .size:           8
        .value_kind:     by_value
      - .offset:         136
        .size:           8
        .value_kind:     by_value
      - .offset:         144
        .size:           8
        .value_kind:     by_value
      - .offset:         152
        .size:           8
        .value_kind:     by_value
      - .offset:         160
        .size:           8
        .value_kind:     by_value
      - .offset:         168
        .size:           8
        .value_kind:     by_value
      - .offset:         176
        .size:           8
        .value_kind:     by_value
      - .offset:         184
        .size:           8
        .value_kind:     by_value
      - .offset:         192
        .size:           8
        .value_kind:     by_value
      - .offset:         200
        .size:           8
        .value_kind:     by_value
      - .offset:         208
        .size:           8
        .value_kind:     by_value
      - .offset:         216
        .size:           8
        .value_kind:     by_value
      - .offset:         224
        .size:           8
        .value_kind:     by_value
      - .offset:         232
        .size:           8
        .value_kind:     by_value
      - .offset:         240
        .size:           8
        .value_kind:     by_value
      - .offset:         248
        .size:           4
        .value_kind:     by_value
      - .offset:         252
        .size:           4
        .value_kind:     by_value
      - .offset:         256
        .size:           4
        .value_kind:     by_value
      - .offset:         260
        .size:           4
        .value_kind:     by_value
      - .offset:         264
        .size:           4
        .value_kind:     by_value
      - .offset:         268
        .size:           4
        .value_kind:     by_value
      - .offset:         272
        .size:           4
        .value_kind:     by_value
      - .offset:         276
        .size:           4
        .value_kind:     by_value
      - .offset:         280
        .size:           4
        .value_kind:     by_value
      - .offset:         288
        .size:           4
        .value_kind:     hidden_block_count_x
      - .offset:         292
        .size:           4
        .value_kind:     hidden_block_count_y
      - .offset:         296
        .size:           4
        .value_kind:     hidden_block_count_z
      - .offset:         300
        .size:           2
        .value_kind:     hidden_group_size_x
      - .offset:         302
        .size:           2
        .value_kind:     hidden_group_size_y
      - .offset:         304
        .size:           2
        .value_kind:     hidden_group_size_z
      - .offset:         306
        .size:           2
        .value_kind:     hidden_remainder_x
      - .offset:         308
        .size:           2
        .value_kind:     hidden_remainder_y
      - .offset:         310
        .size:           2
        .value_kind:     hidden_remainder_z
      - .offset:         328
        .size:           8
        .value_kind:     hidden_global_offset_x
      - .offset:         336
        .size:           8
        .value_kind:     hidden_global_offset_y
      - .offset:         344
        .size:           8
        .value_kind:     hidden_global_offset_z
      - .offset:         352
        .size:           2
        .value_kind:     hidden_grid_dims
    .group_segment_fixed_size: 0
    .kernarg_segment_align: 8
    .kernarg_segment_size: 544
    .language:       OpenCL C
    .language_version:
      - 2
      - 0
    .max_flat_workgroup_size: 1024
    .name:           _ZL16im2col_3d_kernelIfEvPKfPT_llllllllllllllllllllllllllllliiiiiiiii
    .private_segment_fixed_size: 0
    .sgpr_count:     73
    .sgpr_spill_count: 0
    .symbol:         _ZL16im2col_3d_kernelIfEvPKfPT_llllllllllllllllllllllllllllliiiiiiiii.kd
    .uniform_work_group_size: 1
    .uses_dynamic_stack: false
    .vgpr_count:     34
    .vgpr_spill_count: 0
    .wavefront_size: 32
    .workgroup_processor_mode: 1
amdhsa.target:   amdgcn-amd-amdhsa--gfx1100
amdhsa.version:
  - 1
  - 2
...

	.end_amdgpu_metadata
